;; amdgpu-corpus repo=zjin-lcf/HeCBench kind=compiled arch=gfx906 opt=O3
	.amdgcn_target "amdgcn-amd-amdhsa--gfx906"
	.amdhsa_code_object_version 6
	.text
	.protected	_Z38modulated_deformable_im2col_gpu_kerneliPKfS0_S0_iiiiiiiiiiiiiiiiPf ; -- Begin function _Z38modulated_deformable_im2col_gpu_kerneliPKfS0_S0_iiiiiiiiiiiiiiiiPf
	.globl	_Z38modulated_deformable_im2col_gpu_kerneliPKfS0_S0_iiiiiiiiiiiiiiiiPf
	.p2align	8
	.type	_Z38modulated_deformable_im2col_gpu_kerneliPKfS0_S0_iiiiiiiiiiiiiiiiPf,@function
_Z38modulated_deformable_im2col_gpu_kerneliPKfS0_S0_iiiiiiiiiiiiiiiiPf: ; @_Z38modulated_deformable_im2col_gpu_kerneliPKfS0_S0_iiiiiiiiiiiiiiiiPf
; %bb.0:
	s_load_dword s2, s[4:5], 0x74
	s_load_dword s33, s[4:5], 0x0
	s_add_u32 s0, s4, 0x68
	s_addc_u32 s1, s5, 0
	s_waitcnt lgkmcnt(0)
	s_and_b32 s2, s2, 0xffff
	s_mul_i32 s6, s6, s2
	v_add_u32_e32 v4, s6, v0
	v_cmp_gt_i32_e32 vcc, s33, v4
	s_and_saveexec_b64 s[6:7], vcc
	s_cbranch_execz .LBB0_19
; %bb.1:
	s_load_dwordx16 s[8:23], s[4:5], 0x20
	s_load_dwordx4 s[24:27], s[4:5], 0x8
	s_load_dwordx2 s[28:29], s[4:5], 0x18
	s_load_dwordx2 s[30:31], s[4:5], 0x60
	s_load_dword s49, s[0:1], 0x0
	s_waitcnt lgkmcnt(0)
	s_mul_i32 s42, s11, s22
	s_mul_i32 s0, s42, s23
	;; [unrolled: 1-line block ×3, first 2 shown]
	s_lshl_b32 s44, s0, 1
	s_cmp_gt_i32 s10, 0
	s_cselect_b64 s[0:1], -1, 0
	s_cmp_gt_i32 s11, 0
	s_cselect_b64 s[34:35], -1, 0
	s_abs_i32 s47, s23
	v_cvt_f32_u32_e32 v0, s47
	s_abs_i32 s48, s22
	v_cvt_f32_u32_e32 v1, s48
	s_mul_i32 s49, s49, s2
	v_rcp_iflag_f32_e32 v0, v0
	s_sub_i32 s2, 0, s47
	v_rcp_iflag_f32_e32 v1, v1
	s_abs_i32 s50, s20
	v_mul_f32_e32 v0, 0x4f7ffffe, v0
	v_cvt_u32_f32_e32 v0, v0
	v_mul_f32_e32 v1, 0x4f7ffffe, v1
	v_cvt_u32_f32_e32 v1, v1
	v_cvt_f32_u32_e32 v7, s50
	v_mul_lo_u32 v2, s2, v0
	s_sub_i32 s2, 0, s48
	v_mul_lo_u32 v3, s2, v1
	s_abs_i32 s53, s19
	v_mul_hi_u32 v2, v0, v2
	s_abs_i32 s54, s18
	v_mul_hi_u32 v3, v1, v3
	v_rcp_iflag_f32_e32 v9, v7
	v_add_u32_e32 v7, v0, v2
	v_cvt_f32_u32_e32 v2, s54
	v_add_u32_e32 v8, v1, v3
	v_cvt_f32_u32_e32 v1, s53
	v_mul_f32_e32 v0, 0x4f7ffffe, v9
	v_rcp_iflag_f32_e32 v2, v2
	v_cvt_u32_f32_e32 v0, v0
	v_rcp_iflag_f32_e32 v1, v1
	s_sub_i32 s2, 0, s50
	v_mul_f32_e32 v2, 0x4f7ffffe, v2
	v_cvt_u32_f32_e32 v2, v2
	v_mul_f32_e32 v1, 0x4f7ffffe, v1
	v_cvt_u32_f32_e32 v1, v1
	v_mul_lo_u32 v3, s2, v0
	s_sub_i32 s2, 0, s53
	v_cvt_f32_i32_e32 v5, s8
	v_mul_lo_u32 v9, s2, v1
	s_sub_i32 s2, 0, s54
	v_mul_lo_u32 v10, s2, v2
	v_mul_hi_u32 v3, v0, v3
	v_mul_hi_u32 v11, v1, v9
	v_cvt_f32_i32_e32 v6, s9
	v_mul_hi_u32 v12, v2, v10
	s_mul_i32 s36, s23, s22
	s_ashr_i32 s37, s36, 31
	s_mul_i32 s42, s42, s10
	v_add_u32_e32 v9, v0, v3
	s_ashr_i32 s56, s18, 31
	s_lshl_b64 s[18:19], s[36:37], 2
	s_mul_i32 s37, s36, s11
	v_cndmask_b32_e64 v0, 0, 1, s[0:1]
	s_mul_i32 s43, s9, s8
	s_mul_i32 s45, s42, s23
	s_add_i32 s46, s9, -1
	s_add_i32 s8, s8, -1
	s_ashr_i32 s51, s23, 31
	s_ashr_i32 s52, s22, 31
	;; [unrolled: 1-line block ×3, first 2 shown]
	v_add_u32_e32 v10, v1, v11
	v_add_u32_e32 v11, v2, v12
	s_sub_i32 s13, 0, s13
	s_lshl_b32 s57, s37, 1
	s_lshl_b32 s58, s36, 1
	s_mov_b64 s[38:39], 0
	v_cmp_ne_u32_e64 s[0:1], 1, v0
	s_branch .LBB0_3
.LBB0_2:                                ;   in Loop: Header=BB0_3 Depth=1
	v_add_u32_e32 v4, s49, v4
	v_cmp_le_i32_e32 vcc, s33, v4
	s_or_b64 s[38:39], vcc, s[38:39]
	s_andn2_b64 exec, exec, s[38:39]
	s_cbranch_execz .LBB0_19
.LBB0_3:                                ; =>This Loop Header: Depth=1
                                        ;     Child Loop BB0_6 Depth 2
                                        ;       Child Loop BB0_10 Depth 3
	s_and_b64 vcc, exec, s[0:1]
	s_cbranch_vccnz .LBB0_2
; %bb.4:                                ;   in Loop: Header=BB0_3 Depth=1
	v_sub_u32_e32 v0, 0, v4
	v_max_i32_e32 v0, v4, v0
	v_mul_hi_u32 v1, v0, v7
	v_ashrrev_i32_e32 v3, 31, v4
	v_xor_b32_e32 v3, s51, v3
	s_mov_b32 s59, 0
	v_mul_lo_u32 v2, v1, s47
	v_add_u32_e32 v12, 1, v1
	v_sub_u32_e32 v0, v0, v2
	v_cmp_le_u32_e32 vcc, s47, v0
	v_subrev_u32_e32 v2, s47, v0
	v_cndmask_b32_e32 v1, v1, v12, vcc
	v_cndmask_b32_e32 v0, v0, v2, vcc
	v_add_u32_e32 v2, 1, v1
	v_cmp_le_u32_e32 vcc, s47, v0
	v_cndmask_b32_e32 v0, v1, v2, vcc
	v_xor_b32_e32 v0, v0, v3
	v_sub_u32_e32 v0, v0, v3
	v_sub_u32_e32 v1, 0, v0
	v_max_i32_e32 v1, v0, v1
	v_mul_hi_u32 v3, v1, v8
	v_ashrrev_i32_e32 v2, 31, v0
	v_xor_b32_e32 v2, s52, v2
	v_mul_lo_u32 v12, v3, s48
	v_add_u32_e32 v13, 1, v3
	v_sub_u32_e32 v1, v1, v12
	v_cmp_le_u32_e32 vcc, s48, v1
	v_subrev_u32_e32 v12, s48, v1
	v_cndmask_b32_e32 v3, v3, v13, vcc
	v_cndmask_b32_e32 v1, v1, v12, vcc
	v_add_u32_e32 v12, 1, v3
	v_cmp_le_u32_e32 vcc, s48, v1
	v_cndmask_b32_e32 v1, v3, v12, vcc
	v_xor_b32_e32 v17, v1, v2
	v_sub_u32_e32 v3, v17, v2
	v_sub_u32_e32 v1, 0, v3
	v_max_i32_e32 v1, v3, v1
	v_mul_hi_u32 v12, v1, v9
	v_ashrrev_i32_e32 v14, 31, v3
	v_xor_b32_e32 v14, s55, v14
	v_sub_u32_e32 v2, v2, v17
	v_mul_lo_u32 v13, v12, s50
	v_add_u32_e32 v15, 1, v12
	v_mul_lo_u32 v2, s36, v2
	v_sub_u32_e32 v1, v1, v13
	v_cmp_le_u32_e32 vcc, s50, v1
	v_subrev_u32_e32 v13, s50, v1
	v_cndmask_b32_e32 v12, v12, v15, vcc
	v_cndmask_b32_e32 v1, v1, v13, vcc
	v_add_u32_e32 v13, 1, v12
	v_cmp_le_u32_e32 vcc, s50, v1
	v_cndmask_b32_e32 v1, v12, v13, vcc
	v_xor_b32_e32 v1, v1, v14
	v_sub_u32_e32 v1, v1, v14
	v_sub_u32_e32 v12, 0, v1
	v_max_i32_e32 v12, v1, v12
	v_mul_hi_u32 v13, v12, v10
	v_ashrrev_i32_e32 v14, 31, v1
	v_mul_lo_u32 v1, v1, s20
	v_mul_lo_u32 v15, v3, s22
	;; [unrolled: 1-line block ×3, first 2 shown]
	v_sub_u32_e32 v12, v12, v13
	v_subrev_u32_e32 v13, s53, v12
	v_cmp_le_u32_e32 vcc, s53, v12
	v_cndmask_b32_e32 v12, v12, v13, vcc
	v_subrev_u32_e32 v13, s53, v12
	v_cmp_le_u32_e32 vcc, s53, v12
	v_cndmask_b32_e32 v12, v12, v13, vcc
	v_xor_b32_e32 v12, v12, v14
	v_sub_u32_e32 v20, v12, v14
	v_sub_u32_e32 v12, v3, v1
	v_mad_u64_u32 v[13:14], s[2:3], v20, s20, v[12:13]
	v_sub_u32_e32 v14, v0, v15
	v_mov_b32_e32 v1, s31
	v_mad_u64_u32 v[15:16], s[2:3], s42, v13, v[14:15]
	v_mul_lo_u32 v0, v0, s23
	v_mul_lo_u32 v3, s36, v3
	v_mul_lo_u32 v15, v15, s23
	v_sub_u32_e32 v18, v4, v0
	v_ashrrev_i32_e32 v19, 31, v18
	v_ashrrev_i32_e32 v16, 31, v15
	v_lshlrev_b64 v[15:16], 2, v[15:16]
	v_add_co_u32_e32 v15, vcc, s30, v15
	v_addc_co_u32_e32 v16, vcc, v1, v16, vcc
	v_sub_u32_e32 v1, 0, v12
	v_max_i32_e32 v21, v12, v1
	v_mul_hi_u32 v22, v21, v11
	v_lshlrev_b64 v[0:1], 2, v[18:19]
	v_ashrrev_i32_e32 v12, 31, v12
	v_add_co_u32_e32 v0, vcc, v15, v0
	v_mul_lo_u32 v19, v22, s54
	v_addc_co_u32_e32 v1, vcc, v16, v1, vcc
	v_mul_lo_u32 v15, s43, v13
	v_sub_u32_e32 v13, v21, v19
	v_add_u32_e32 v16, 1, v22
	v_cmp_le_u32_e32 vcc, s54, v13
	v_subrev_u32_e32 v19, s54, v13
	v_cndmask_b32_e32 v16, v22, v16, vcc
	v_cndmask_b32_e32 v13, v13, v19, vcc
	v_add_u32_e32 v19, 1, v16
	v_cmp_le_u32_e32 vcc, s54, v13
	v_cndmask_b32_e32 v13, v16, v19, vcc
	v_xor_b32_e32 v12, s56, v12
	v_xor_b32_e32 v13, v13, v12
	v_sub_u32_e32 v12, v13, v12
	v_mad_u64_u32 v[19:20], s[2:3], v20, s21, v[12:13]
	v_ashrrev_i32_e32 v16, 31, v15
	v_lshlrev_b64 v[12:13], 2, v[15:16]
	v_mul_lo_u32 v15, s44, v19
	v_mov_b32_e32 v16, s25
	v_add_co_u32_e32 v12, vcc, s24, v12
	v_addc_co_u32_e32 v13, vcc, v16, v13, vcc
	v_ashrrev_i32_e32 v16, 31, v15
	v_mul_lo_u32 v21, v14, s14
	v_mul_lo_u32 v19, s45, v19
	v_lshlrev_b64 v[15:16], 2, v[15:16]
	v_mov_b32_e32 v20, s27
	v_add_co_u32_e32 v14, vcc, s26, v15
	v_addc_co_u32_e32 v15, vcc, v20, v16, vcc
	v_subrev_u32_e32 v16, s12, v21
	v_mul_lo_u32 v21, v18, s15
	v_ashrrev_i32_e32 v20, 31, v19
	v_lshlrev_b64 v[18:19], 2, v[19:20]
	v_mov_b32_e32 v20, s29
	v_add_co_u32_e32 v17, vcc, s28, v18
	v_addc_co_u32_e32 v18, vcc, v20, v19, vcc
	v_add_u32_e32 v19, s13, v21
	v_sub_u32_e32 v21, v4, v3
	v_add3_u32 v20, v2, s36, v4
	v_mov_b32_e32 v22, v21
	s_branch .LBB0_6
.LBB0_5:                                ;   in Loop: Header=BB0_6 Depth=2
	s_add_i32 s59, s59, 1
	v_add_u32_e32 v20, s57, v20
	v_add_u32_e32 v22, s57, v22
	s_cmp_eq_u32 s59, s10
	v_add_u32_e32 v21, s37, v21
	s_cbranch_scc1 .LBB0_2
.LBB0_6:                                ;   Parent Loop BB0_3 Depth=1
                                        ; =>  This Loop Header: Depth=2
                                        ;       Child Loop BB0_10 Depth 3
	s_andn2_b64 vcc, exec, s[34:35]
	s_cbranch_vccnz .LBB0_5
; %bb.7:                                ;   in Loop: Header=BB0_6 Depth=2
	s_mul_i32 s2, s59, s16
	v_add_u32_e32 v2, s2, v16
	v_cvt_f32_i32_e32 v23, v2
	s_mov_b32 s60, 0
	v_mov_b32_e32 v2, v21
	v_mov_b32_e32 v24, v19
	s_mov_b32 s61, s11
	s_branch .LBB0_10
.LBB0_8:                                ;   in Loop: Header=BB0_10 Depth=3
	s_or_b64 exec, exec, s[2:3]
	v_cvt_f32_i32_e32 v3, v3
	v_cvt_f32_i32_e32 v28, v28
	v_sub_f32_e32 v3, v27, v3
	v_sub_f32_e32 v26, v26, v28
	v_sub_f32_e32 v27, 1.0, v3
	v_sub_f32_e32 v28, 1.0, v26
	v_mul_f32_e32 v31, v28, v27
	v_mul_f32_e32 v28, v28, v3
	;; [unrolled: 1-line block ×4, first 2 shown]
	s_waitcnt vmcnt(0)
	v_mul_f32_e32 v3, v28, v30
	v_fmac_f32_e32 v3, v31, v29
	v_fmac_f32_e32 v3, v27, v33
	;; [unrolled: 1-line block ×3, first 2 shown]
.LBB0_9:                                ;   in Loop: Header=BB0_10 Depth=3
	s_or_b64 exec, exec, s[6:7]
	s_waitcnt vmcnt(0)
	v_mul_f32_e32 v3, v25, v3
	global_store_dword v[0:1], v3, off
	v_mov_b32_e32 v3, s19
	v_add_co_u32_e32 v0, vcc, s18, v0
	s_add_i32 s61, s61, -1
	s_add_i32 s60, s60, s58
	v_addc_co_u32_e32 v1, vcc, v1, v3, vcc
	v_add_u32_e32 v24, s17, v24
	s_cmp_eq_u32 s61, 0
	v_add_u32_e32 v2, s36, v2
	s_cbranch_scc1 .LBB0_5
.LBB0_10:                               ;   Parent Loop BB0_3 Depth=1
                                        ;     Parent Loop BB0_6 Depth=2
                                        ; =>    This Inner Loop Header: Depth=3
	v_add_u32_e32 v25, s60, v22
	v_ashrrev_i32_e32 v26, 31, v25
	v_add_u32_e32 v27, s60, v20
	v_lshlrev_b64 v[25:26], 2, v[25:26]
	v_ashrrev_i32_e32 v28, 31, v27
	v_add_co_u32_e32 v25, vcc, v14, v25
	v_lshlrev_b64 v[27:28], 2, v[27:28]
	v_addc_co_u32_e32 v26, vcc, v15, v26, vcc
	v_add_co_u32_e32 v27, vcc, v14, v27
	v_addc_co_u32_e32 v28, vcc, v15, v28, vcc
	global_load_dword v29, v[25:26], off
	s_nop 0
	global_load_dword v27, v[27:28], off
	v_ashrrev_i32_e32 v3, 31, v2
	v_lshlrev_b64 v[25:26], 2, v[2:3]
	v_cvt_f32_i32_e32 v3, v24
	v_add_co_u32_e32 v25, vcc, v17, v25
	v_addc_co_u32_e32 v26, vcc, v18, v26, vcc
	global_load_dword v25, v[25:26], off
	s_waitcnt vmcnt(2)
	v_add_f32_e32 v26, v29, v23
	s_waitcnt vmcnt(1)
	v_add_f32_e32 v27, v27, v3
	v_cmp_lt_f32_e32 vcc, -1.0, v26
	v_cmp_lt_f32_e64 s[2:3], -1.0, v27
	v_cmp_lt_f32_e64 s[4:5], v26, v5
	s_and_b64 s[2:3], vcc, s[2:3]
	v_cmp_lt_f32_e64 s[6:7], v27, v6
	s_and_b64 s[2:3], s[4:5], s[2:3]
	s_and_b64 s[2:3], s[2:3], s[6:7]
	v_mov_b32_e32 v3, 0
	s_and_saveexec_b64 s[6:7], s[2:3]
	s_cbranch_execz .LBB0_9
; %bb.11:                               ;   in Loop: Header=BB0_10 Depth=3
	v_floor_f32_e32 v3, v26
	v_cvt_i32_f32_e32 v28, v3
	v_floor_f32_e32 v3, v27
	v_cvt_i32_f32_e32 v3, v3
	v_mov_b32_e32 v30, 0
	v_cmp_lt_i32_e64 s[4:5], -1, v28
	v_or_b32_e32 v29, v28, v3
	v_cmp_lt_i32_e32 vcc, -1, v3
	v_cmp_lt_i32_e64 s[2:3], -1, v29
	v_mov_b32_e32 v29, 0
	s_and_saveexec_b64 s[40:41], s[2:3]
	s_cbranch_execz .LBB0_13
; %bb.12:                               ;   in Loop: Header=BB0_10 Depth=3
	v_mad_u64_u32 v[31:32], s[2:3], s9, v28, v[3:4]
	v_ashrrev_i32_e32 v32, 31, v31
	v_lshlrev_b64 v[31:32], 2, v[31:32]
	v_add_co_u32_e64 v31, s[2:3], v12, v31
	v_addc_co_u32_e64 v32, s[2:3], v13, v32, s[2:3]
	global_load_dword v29, v[31:32], off
.LBB0_13:                               ;   in Loop: Header=BB0_10 Depth=3
	s_or_b64 exec, exec, s[40:41]
	v_cmp_gt_i32_e64 s[2:3], s46, v3
	s_and_b64 s[4:5], s[4:5], s[2:3]
	v_ashrrev_i32_e32 v31, 31, v3
	s_and_saveexec_b64 s[40:41], s[4:5]
	s_cbranch_execz .LBB0_15
; %bb.14:                               ;   in Loop: Header=BB0_10 Depth=3
	v_mul_lo_u32 v30, s9, v28
	v_ashrrev_i32_e32 v33, 31, v30
	v_add_co_u32_e64 v32, s[4:5], v3, v30
	v_addc_co_u32_e64 v33, s[4:5], v31, v33, s[4:5]
	v_lshlrev_b64 v[32:33], 2, v[32:33]
	v_add_co_u32_e64 v32, s[4:5], v12, v32
	v_addc_co_u32_e64 v33, s[4:5], v13, v33, s[4:5]
	global_load_dword v30, v[32:33], off offset:4
.LBB0_15:                               ;   in Loop: Header=BB0_10 Depth=3
	s_or_b64 exec, exec, s[40:41]
	v_cmp_gt_i32_e64 s[4:5], s8, v28
	v_add_u32_e32 v34, 1, v28
	s_and_b64 s[62:63], s[4:5], vcc
	v_mov_b32_e32 v32, 0
	v_mov_b32_e32 v33, 0
	s_and_saveexec_b64 s[40:41], s[62:63]
	s_cbranch_execz .LBB0_17
; %bb.16:                               ;   in Loop: Header=BB0_10 Depth=3
	v_mad_u64_u32 v[35:36], s[62:63], v34, s9, v[3:4]
	v_ashrrev_i32_e32 v36, 31, v35
	v_lshlrev_b64 v[35:36], 2, v[35:36]
	v_add_co_u32_e32 v35, vcc, v12, v35
	v_addc_co_u32_e32 v36, vcc, v13, v36, vcc
	global_load_dword v33, v[35:36], off
.LBB0_17:                               ;   in Loop: Header=BB0_10 Depth=3
	s_or_b64 exec, exec, s[40:41]
	s_and_b64 s[4:5], s[4:5], s[2:3]
	s_and_saveexec_b64 s[2:3], s[4:5]
	s_cbranch_execz .LBB0_8
; %bb.18:                               ;   in Loop: Header=BB0_10 Depth=3
	v_mul_lo_u32 v32, v34, s9
	v_ashrrev_i32_e32 v35, 31, v32
	v_add_co_u32_e32 v34, vcc, v32, v3
	v_addc_co_u32_e32 v35, vcc, v35, v31, vcc
	v_lshlrev_b64 v[31:32], 2, v[34:35]
	v_add_co_u32_e32 v31, vcc, v12, v31
	v_addc_co_u32_e32 v32, vcc, v13, v32, vcc
	global_load_dword v32, v[31:32], off offset:4
	s_branch .LBB0_8
.LBB0_19:
	s_endpgm
	.section	.rodata,"a",@progbits
	.p2align	6, 0x0
	.amdhsa_kernel _Z38modulated_deformable_im2col_gpu_kerneliPKfS0_S0_iiiiiiiiiiiiiiiiPf
		.amdhsa_group_segment_fixed_size 0
		.amdhsa_private_segment_fixed_size 0
		.amdhsa_kernarg_size 360
		.amdhsa_user_sgpr_count 6
		.amdhsa_user_sgpr_private_segment_buffer 1
		.amdhsa_user_sgpr_dispatch_ptr 0
		.amdhsa_user_sgpr_queue_ptr 0
		.amdhsa_user_sgpr_kernarg_segment_ptr 1
		.amdhsa_user_sgpr_dispatch_id 0
		.amdhsa_user_sgpr_flat_scratch_init 0
		.amdhsa_user_sgpr_private_segment_size 0
		.amdhsa_uses_dynamic_stack 0
		.amdhsa_system_sgpr_private_segment_wavefront_offset 0
		.amdhsa_system_sgpr_workgroup_id_x 1
		.amdhsa_system_sgpr_workgroup_id_y 0
		.amdhsa_system_sgpr_workgroup_id_z 0
		.amdhsa_system_sgpr_workgroup_info 0
		.amdhsa_system_vgpr_workitem_id 0
		.amdhsa_next_free_vgpr 37
		.amdhsa_next_free_sgpr 64
		.amdhsa_reserve_vcc 1
		.amdhsa_reserve_flat_scratch 0
		.amdhsa_float_round_mode_32 0
		.amdhsa_float_round_mode_16_64 0
		.amdhsa_float_denorm_mode_32 3
		.amdhsa_float_denorm_mode_16_64 3
		.amdhsa_dx10_clamp 1
		.amdhsa_ieee_mode 1
		.amdhsa_fp16_overflow 0
		.amdhsa_exception_fp_ieee_invalid_op 0
		.amdhsa_exception_fp_denorm_src 0
		.amdhsa_exception_fp_ieee_div_zero 0
		.amdhsa_exception_fp_ieee_overflow 0
		.amdhsa_exception_fp_ieee_underflow 0
		.amdhsa_exception_fp_ieee_inexact 0
		.amdhsa_exception_int_div_zero 0
	.end_amdhsa_kernel
	.text
.Lfunc_end0:
	.size	_Z38modulated_deformable_im2col_gpu_kerneliPKfS0_S0_iiiiiiiiiiiiiiiiPf, .Lfunc_end0-_Z38modulated_deformable_im2col_gpu_kerneliPKfS0_S0_iiiiiiiiiiiiiiiiPf
                                        ; -- End function
	.set _Z38modulated_deformable_im2col_gpu_kerneliPKfS0_S0_iiiiiiiiiiiiiiiiPf.num_vgpr, 37
	.set _Z38modulated_deformable_im2col_gpu_kerneliPKfS0_S0_iiiiiiiiiiiiiiiiPf.num_agpr, 0
	.set _Z38modulated_deformable_im2col_gpu_kerneliPKfS0_S0_iiiiiiiiiiiiiiiiPf.numbered_sgpr, 64
	.set _Z38modulated_deformable_im2col_gpu_kerneliPKfS0_S0_iiiiiiiiiiiiiiiiPf.num_named_barrier, 0
	.set _Z38modulated_deformable_im2col_gpu_kerneliPKfS0_S0_iiiiiiiiiiiiiiiiPf.private_seg_size, 0
	.set _Z38modulated_deformable_im2col_gpu_kerneliPKfS0_S0_iiiiiiiiiiiiiiiiPf.uses_vcc, 1
	.set _Z38modulated_deformable_im2col_gpu_kerneliPKfS0_S0_iiiiiiiiiiiiiiiiPf.uses_flat_scratch, 0
	.set _Z38modulated_deformable_im2col_gpu_kerneliPKfS0_S0_iiiiiiiiiiiiiiiiPf.has_dyn_sized_stack, 0
	.set _Z38modulated_deformable_im2col_gpu_kerneliPKfS0_S0_iiiiiiiiiiiiiiiiPf.has_recursion, 0
	.set _Z38modulated_deformable_im2col_gpu_kerneliPKfS0_S0_iiiiiiiiiiiiiiiiPf.has_indirect_call, 0
	.section	.AMDGPU.csdata,"",@progbits
; Kernel info:
; codeLenInByte = 1828
; TotalNumSgprs: 68
; NumVgprs: 37
; ScratchSize: 0
; MemoryBound: 0
; FloatMode: 240
; IeeeMode: 1
; LDSByteSize: 0 bytes/workgroup (compile time only)
; SGPRBlocks: 8
; VGPRBlocks: 9
; NumSGPRsForWavesPerEU: 68
; NumVGPRsForWavesPerEU: 37
; Occupancy: 6
; WaveLimiterHint : 0
; COMPUTE_PGM_RSRC2:SCRATCH_EN: 0
; COMPUTE_PGM_RSRC2:USER_SGPR: 6
; COMPUTE_PGM_RSRC2:TRAP_HANDLER: 0
; COMPUTE_PGM_RSRC2:TGID_X_EN: 1
; COMPUTE_PGM_RSRC2:TGID_Y_EN: 0
; COMPUTE_PGM_RSRC2:TGID_Z_EN: 0
; COMPUTE_PGM_RSRC2:TIDIG_COMP_CNT: 0
	.text
	.protected	_Z38modulated_deformable_col2im_gpu_kerneliPKfS0_S0_iiiiiiiiiiiiiiiiPf ; -- Begin function _Z38modulated_deformable_col2im_gpu_kerneliPKfS0_S0_iiiiiiiiiiiiiiiiPf
	.globl	_Z38modulated_deformable_col2im_gpu_kerneliPKfS0_S0_iiiiiiiiiiiiiiiiPf
	.p2align	8
	.type	_Z38modulated_deformable_col2im_gpu_kerneliPKfS0_S0_iiiiiiiiiiiiiiiiPf,@function
_Z38modulated_deformable_col2im_gpu_kerneliPKfS0_S0_iiiiiiiiiiiiiiiiPf: ; @_Z38modulated_deformable_col2im_gpu_kerneliPKfS0_S0_iiiiiiiiiiiiiiiiPf
; %bb.0:
	s_load_dword s2, s[4:5], 0x74
	s_load_dword s33, s[4:5], 0x0
	s_add_u32 s0, s4, 0x68
	s_addc_u32 s1, s5, 0
	s_waitcnt lgkmcnt(0)
	s_and_b32 s2, s2, 0xffff
	s_mul_i32 s6, s6, s2
	v_add_u32_e32 v0, s6, v0
	v_cmp_gt_i32_e32 vcc, s33, v0
	s_and_saveexec_b64 s[6:7], vcc
	s_cbranch_execz .LBB1_158
; %bb.1:
	s_load_dwordx16 s[12:27], s[4:5], 0x20
	s_load_dwordx4 s[28:31], s[4:5], 0x8
	s_load_dwordx2 s[34:35], s[4:5], 0x18
	s_load_dwordx2 s[36:37], s[4:5], 0x60
	s_load_dword s51, s[0:1], 0x0
	s_waitcnt lgkmcnt(0)
	s_abs_i32 s50, s27
	v_cvt_f32_u32_e32 v1, s50
	s_abs_i32 s53, s26
	s_sub_i32 s1, 0, s50
	v_cvt_f32_u32_e32 v2, s53
	v_rcp_iflag_f32_e32 v1, v1
	s_abs_i32 s54, s24
	v_cvt_f32_u32_e32 v4, s54
	v_rcp_iflag_f32_e32 v2, v2
	v_mul_f32_e32 v1, 0x4f7ffffe, v1
	v_cvt_u32_f32_e32 v1, v1
	s_mul_i32 s0, s16, s26
	v_mul_f32_e32 v2, 0x4f7ffffe, v2
	s_mul_i32 s55, s0, s27
	v_mul_lo_u32 v3, s1, v1
	s_sub_i32 s0, 0, s53
	s_abs_i32 s58, s16
	s_abs_i32 s60, s15
	v_mul_hi_u32 v3, v1, v3
	s_abs_i32 s61, s23
	v_cvt_f32_u32_e32 v9, s13
	v_cvt_f32_u32_e32 v10, s14
	v_add_u32_e32 v11, v1, v3
	v_cvt_u32_f32_e32 v1, v2
	v_rcp_iflag_f32_e32 v2, v4
	v_cvt_f32_u32_e32 v4, s58
	s_mul_i32 s55, s55, s15
	v_mul_lo_u32 v3, s0, v1
	v_mul_f32_e32 v2, 0x4f7ffffe, v2
	v_cvt_u32_f32_e32 v2, v2
	s_sub_i32 s0, 0, s54
	v_mul_hi_u32 v3, v1, v3
	v_rcp_iflag_f32_e32 v4, v4
	v_mul_lo_u32 v5, s0, v2
	s_sub_i32 s0, 0, s58
	v_add_u32_e32 v12, v1, v3
	v_mul_f32_e32 v3, 0x4f7ffffe, v4
	v_cvt_f32_u32_e32 v4, s60
	v_mul_hi_u32 v1, v2, v5
	v_cvt_f32_u32_e32 v5, s61
	v_cvt_u32_f32_e32 v3, v3
	v_rcp_iflag_f32_e32 v4, v4
	v_add_u32_e32 v13, v2, v1
	v_rcp_iflag_f32_e32 v1, v5
	v_mul_lo_u32 v6, s0, v3
	v_mul_f32_e32 v4, 0x4f7ffffe, v4
	v_cvt_u32_f32_e32 v4, v4
	v_mul_f32_e32 v1, 0x4f7ffffe, v1
	v_cvt_u32_f32_e32 v1, v1
	s_sub_i32 s0, 0, s60
	v_mul_lo_u32 v5, s0, v4
	s_sub_i32 s0, 0, s61
	v_mul_hi_u32 v2, v3, v6
	v_mul_lo_u32 v6, s0, v1
	v_mul_hi_u32 v5, v4, v5
	s_mul_i32 s51, s51, s2
	v_add_u32_e32 v14, v3, v2
	v_mul_hi_u32 v2, v1, v6
	s_ashr_i32 s52, s27, 31
	s_lshl_b32 s56, s55, 1
	s_ashr_i32 s57, s26, 31
	s_ashr_i32 s59, s24, 31
	;; [unrolled: 1-line block ×4, first 2 shown]
	v_add_u32_e32 v15, v4, v5
	s_ashr_i32 s23, s23, 31
	v_add_u32_e32 v16, v1, v2
	s_mov_b64 s[38:39], 0
	v_mov_b32_e32 v17, s31
	v_mov_b32_e32 v18, s35
	v_mov_b32_e32 v19, s29
	s_branch .LBB1_3
.LBB1_2:                                ;   in Loop: Header=BB1_3 Depth=1
	s_or_b64 exec, exec, s[42:43]
	v_add_u32_e32 v0, s51, v0
	v_cmp_le_i32_e32 vcc, s33, v0
	s_or_b64 s[38:39], vcc, s[38:39]
	s_andn2_b64 exec, exec, s[38:39]
	s_cbranch_execz .LBB1_158
.LBB1_3:                                ; =>This Loop Header: Depth=1
                                        ;     Child Loop BB1_9 Depth 2
                                        ;     Child Loop BB1_15 Depth 2
	;; [unrolled: 1-line block ×25, first 2 shown]
	v_sub_u32_e32 v1, 0, v0
	v_max_i32_e32 v2, v0, v1
	v_mul_hi_u32 v3, v2, v11
	v_ashrrev_i32_e32 v1, 31, v0
	v_xor_b32_e32 v5, s52, v1
	v_mul_lo_u32 v4, v3, s50
	v_add_u32_e32 v6, 1, v3
	v_sub_u32_e32 v2, v2, v4
	v_cmp_le_u32_e32 vcc, s50, v2
	v_subrev_u32_e32 v4, s50, v2
	v_cndmask_b32_e32 v3, v3, v6, vcc
	v_cndmask_b32_e32 v2, v2, v4, vcc
	v_add_u32_e32 v4, 1, v3
	v_cmp_le_u32_e32 vcc, s50, v2
	v_cndmask_b32_e32 v2, v3, v4, vcc
	v_xor_b32_e32 v2, v2, v5
	v_sub_u32_e32 v3, v2, v5
	v_sub_u32_e32 v2, 0, v3
	v_max_i32_e32 v2, v3, v2
	v_mul_hi_u32 v4, v2, v12
	v_ashrrev_i32_e32 v6, 31, v3
	v_xor_b32_e32 v6, s57, v6
	v_mul_lo_u32 v5, v4, s53
	v_add_u32_e32 v7, 1, v4
	v_sub_u32_e32 v2, v2, v5
	v_cmp_le_u32_e32 vcc, s53, v2
	v_subrev_u32_e32 v5, s53, v2
	v_cndmask_b32_e32 v4, v4, v7, vcc
	v_cndmask_b32_e32 v2, v2, v5, vcc
	v_add_u32_e32 v5, 1, v4
	v_cmp_le_u32_e32 vcc, s53, v2
	v_cndmask_b32_e32 v2, v4, v5, vcc
	v_xor_b32_e32 v2, v2, v6
	v_sub_u32_e32 v4, v2, v6
	;; [unrolled: 17-line block ×4, first 2 shown]
	v_sub_u32_e32 v2, 0, v8
	v_max_i32_e32 v2, v8, v2
	v_mul_hi_u32 v5, v2, v15
	v_mul_lo_u32 v6, v5, s60
	v_add_u32_e32 v20, 1, v5
	v_sub_u32_e32 v2, v2, v6
	v_cmp_le_u32_e32 vcc, s60, v2
	v_subrev_u32_e32 v6, s60, v2
	v_cndmask_b32_e32 v5, v5, v20, vcc
	v_cndmask_b32_e32 v2, v2, v6, vcc
	v_add_u32_e32 v6, 1, v5
	v_ashrrev_i32_e32 v20, 31, v8
	v_cmp_le_u32_e32 vcc, s60, v2
	v_xor_b32_e32 v20, s63, v20
	v_cndmask_b32_e32 v2, v5, v6, vcc
	v_xor_b32_e32 v2, v2, v20
	v_sub_u32_e32 v2, v2, v20
	v_sub_u32_e32 v5, 0, v2
	v_max_i32_e32 v5, v2, v5
	v_mul_hi_u32 v6, v5, v16
	v_mul_lo_u32 v20, v6, s61
	v_add_u32_e32 v21, 1, v6
	v_sub_u32_e32 v5, v5, v20
	v_cmp_le_u32_e32 vcc, s61, v5
	v_subrev_u32_e32 v20, s61, v5
	v_cndmask_b32_e32 v6, v6, v21, vcc
	v_cndmask_b32_e32 v5, v5, v20, vcc
	v_add_u32_e32 v20, 1, v6
	v_cmp_le_u32_e32 vcc, s61, v5
	v_cndmask_b32_e32 v5, v6, v20, vcc
	v_mul_lo_u32 v20, v7, s24
	v_mul_lo_u32 v21, v8, s16
	v_ashrrev_i32_e32 v6, 31, v2
	v_xor_b32_e32 v6, s23, v6
	v_sub_u32_e32 v24, v4, v20
	v_mul_lo_u32 v20, v2, s15
	v_xor_b32_e32 v5, v5, v6
	v_sub_u32_e32 v5, v5, v6
	v_mad_u64_u32 v[5:6], s[0:1], v24, s25, v[5:6]
	v_sub_u32_e32 v25, v8, v20
	v_sub_u32_e32 v8, v7, v21
	v_mad_u64_u32 v[20:21], s[0:1], v25, s16, v[8:9]
	v_mul_lo_u32 v4, v4, s26
	v_mul_lo_u32 v21, v3, s27
	;; [unrolled: 1-line block ×4, first 2 shown]
	v_sub_u32_e32 v26, v3, v4
	v_sub_u32_e32 v3, v0, v21
	v_lshl_add_u32 v4, v22, 1, v26
	v_mad_u64_u32 v[20:21], s[0:1], v4, s27, v[3:4]
	v_ashrrev_i32_e32 v7, 31, v6
	v_lshlrev_b64 v[6:7], 2, v[6:7]
	v_ashrrev_i32_e32 v21, 31, v20
	v_add_co_u32_e32 v23, vcc, s30, v6
	v_add_u32_e32 v4, s26, v4
	v_addc_co_u32_e32 v27, vcc, v17, v7, vcc
	v_lshlrev_b64 v[6:7], 2, v[20:21]
	v_mad_u64_u32 v[20:21], s[0:1], v4, s27, v[3:4]
	v_mul_lo_u32 v4, s55, v5
	v_add_co_u32_e32 v6, vcc, v23, v6
	v_ashrrev_i32_e32 v21, 31, v20
	v_ashrrev_i32_e32 v5, 31, v4
	v_lshlrev_b64 v[20:21], 2, v[20:21]
	v_lshlrev_b64 v[4:5], 2, v[4:5]
	v_addc_co_u32_e32 v7, vcc, v27, v7, vcc
	v_add_u32_e32 v22, v26, v22
	v_add_co_u32_e32 v20, vcc, v23, v20
	v_mad_u64_u32 v[22:23], s[0:1], v22, s27, v[3:4]
	v_addc_co_u32_e32 v21, vcc, v27, v21, vcc
	v_add_co_u32_e32 v27, vcc, s34, v4
	v_ashrrev_i32_e32 v23, 31, v22
	v_addc_co_u32_e32 v28, vcc, v18, v5, vcc
	v_lshlrev_b64 v[4:5], 2, v[22:23]
	v_lshlrev_b64 v[22:23], 2, v[0:1]
	v_add_co_u32_e32 v4, vcc, v27, v4
	v_addc_co_u32_e32 v5, vcc, v28, v5, vcc
	v_add_co_u32_e32 v22, vcc, s28, v22
	v_addc_co_u32_e32 v23, vcc, v19, v23, vcc
	global_load_dword v27, v[6:7], off
	global_load_dword v28, v[20:21], off
	;; [unrolled: 1-line block ×4, first 2 shown]
	v_mul_lo_u32 v4, v25, s21
	v_mul_lo_u32 v1, v8, s22
	v_subrev_u32_e32 v4, s17, v4
	v_mad_u64_u32 v[4:5], s[0:1], v26, s19, v[4:5]
	v_subrev_u32_e32 v1, s18, v1
	v_mad_u64_u32 v[5:6], s[0:1], v3, s20, v[1:2]
	v_cvt_f32_i32_e32 v3, v4
	v_cvt_f32_i32_e32 v4, v5
	v_mad_u64_u32 v[1:2], s[0:1], v24, s12, v[2:3]
	s_waitcnt vmcnt(3)
	v_add_f32_e32 v25, v27, v3
	v_cvt_i32_f32_e32 v2, v25
	s_waitcnt vmcnt(2)
	v_add_f32_e32 v21, v28, v4
	v_cmp_ge_f32_e64 s[2:3], v25, v9
	v_cmp_ge_f32_e64 s[4:5], -1.0, v21
	v_floor_f32_e32 v3, v25
	v_floor_f32_e32 v4, v21
	s_or_b64 s[40:41], s[4:5], s[2:3]
	v_cvt_i32_f32_e32 v27, v3
	v_cvt_i32_f32_e32 v22, v4
	v_mad_u64_u32 v[3:4], s[2:3], v1, s13, v[2:3]
	v_cvt_i32_f32_e32 v1, v21
	v_add_u32_e32 v6, -2, v2
	s_waitcnt vmcnt(0)
	v_mul_f32_e32 v20, v30, v29
	v_cmp_lt_i32_e64 s[2:3], 1, v2
	v_cmp_gt_i32_e64 s[4:5], s13, v6
	v_add_u32_e32 v4, -2, v3
	v_add_u32_e32 v30, -1, v2
	s_and_b64 s[2:3], s[2:3], s[4:5]
	v_mad_u64_u32 v[4:5], s[4:5], v4, s14, v[1:2]
	v_cvt_f32_u32_e32 v31, v30
	v_cmp_ge_f32_e32 vcc, -1.0, v25
	v_cmp_ge_f32_e64 s[0:1], v21, v10
	v_add_u32_e32 v28, 1, v27
	v_add_u32_e32 v23, 1, v22
	v_add_f32_e32 v24, 1.0, v21
	v_add_f32_e32 v29, 1.0, v25
	v_add_u32_e32 v26, -2, v1
	s_and_saveexec_b64 s[42:43], s[2:3]
	s_cbranch_execz .LBB1_34
; %bb.4:                                ;   in Loop: Header=BB1_3 Depth=1
	v_cvt_f32_u32_e32 v5, v6
	v_cmp_eq_u32_e64 s[4:5], v6, v27
	v_cmp_eq_u32_e64 s[2:3], v6, v28
	v_cmp_gt_i32_e64 s[6:7], 2, v1
	v_sub_f32_e32 v6, v25, v5
	v_cmp_le_i32_e64 s[8:9], s14, v26
	v_cmp_nlt_f32_e64 s[44:45], |v6|, 1.0
	s_or_b64 s[6:7], s[6:7], s[8:9]
	v_sub_f32_e32 v33, v31, v25
	v_sub_f32_e32 v32, v29, v5
	s_nor_b64 s[6:7], s[6:7], s[44:45]
	s_and_saveexec_b64 s[46:47], s[6:7]
	s_cbranch_execz .LBB1_10
; %bb.5:                                ;   in Loop: Header=BB1_3 Depth=1
	v_cvt_f32_u32_e32 v5, v26
	v_sub_f32_e32 v6, v21, v5
	v_cmp_lt_f32_e64 s[6:7], |v6|, 1.0
	s_and_b64 exec, exec, s[6:7]
	s_cbranch_execz .LBB1_10
; %bb.6:                                ;   in Loop: Header=BB1_3 Depth=1
	s_or_b64 s[6:7], vcc, s[40:41]
	s_nor_b64 s[6:7], s[6:7], s[0:1]
	v_mov_b32_e32 v7, 0
	s_and_saveexec_b64 s[48:49], s[6:7]
	s_cbranch_execz .LBB1_8
; %bb.7:                                ;   in Loop: Header=BB1_3 Depth=1
	v_add_u32_e32 v6, -1, v1
	v_cvt_f32_u32_e32 v6, v6
	v_cmp_eq_u32_e64 s[6:7], v26, v22
	v_cmp_eq_u32_e64 s[8:9], v26, v23
	s_and_b64 s[10:11], s[4:5], s[6:7]
	v_sub_f32_e32 v6, v6, v21
	v_mul_f32_e32 v7, v33, v6
	v_sub_f32_e32 v5, v24, v5
	v_cndmask_b32_e64 v7, 0, v7, s[10:11]
	v_mul_f32_e32 v8, v33, v5
	s_and_b64 s[10:11], s[4:5], s[8:9]
	v_cndmask_b32_e64 v7, v7, v8, s[10:11]
	v_mul_f32_e32 v6, v32, v6
	s_and_b64 s[6:7], s[2:3], s[6:7]
	;; [unrolled: 3-line block ×3, first 2 shown]
	v_cndmask_b32_e64 v7, v6, v5, s[6:7]
.LBB1_8:                                ;   in Loop: Header=BB1_3 Depth=1
	s_or_b64 exec, exec, s[48:49]
	v_ashrrev_i32_e32 v5, 31, v4
	v_lshlrev_b64 v[5:6], 2, v[4:5]
	v_mov_b32_e32 v8, s37
	v_add_co_u32_e64 v5, s[6:7], s36, v5
	v_addc_co_u32_e64 v6, s[6:7], v8, v6, s[6:7]
	global_load_dword v8, v[5:6], off offset:-8
	v_mul_f32_e32 v34, v20, v7
	s_mov_b64 s[8:9], 0
.LBB1_9:                                ;   Parent Loop BB1_3 Depth=1
                                        ; =>  This Inner Loop Header: Depth=2
	s_waitcnt vmcnt(0)
	v_add_f32_e32 v7, v8, v34
	global_atomic_cmpswap v7, v[5:6], v[7:8], off offset:-8 glc
	s_waitcnt vmcnt(0)
	v_cmp_eq_u32_e64 s[6:7], v7, v8
	s_or_b64 s[8:9], s[6:7], s[8:9]
	v_mov_b32_e32 v8, v7
	s_andn2_b64 exec, exec, s[8:9]
	s_cbranch_execnz .LBB1_9
.LBB1_10:                               ;   in Loop: Header=BB1_3 Depth=1
	s_or_b64 exec, exec, s[46:47]
	v_cmp_gt_i32_e64 s[6:7], 1, v1
	v_cmp_lt_i32_e64 s[8:9], s14, v1
	s_or_b64 s[6:7], s[6:7], s[8:9]
	s_nor_b64 s[6:7], s[6:7], s[44:45]
	s_and_saveexec_b64 s[46:47], s[6:7]
	s_cbranch_execz .LBB1_16
; %bb.11:                               ;   in Loop: Header=BB1_3 Depth=1
	v_add_u32_e32 v6, -1, v1
	v_cvt_f32_u32_e32 v5, v6
	v_sub_f32_e32 v7, v21, v5
	v_cmp_lt_f32_e64 s[6:7], |v7|, 1.0
	s_and_b64 exec, exec, s[6:7]
	s_cbranch_execz .LBB1_16
; %bb.12:                               ;   in Loop: Header=BB1_3 Depth=1
	s_or_b64 s[6:7], vcc, s[40:41]
	s_nor_b64 s[6:7], s[6:7], s[0:1]
	v_mov_b32_e32 v7, 0
	s_and_saveexec_b64 s[48:49], s[6:7]
	s_cbranch_execz .LBB1_14
; %bb.13:                               ;   in Loop: Header=BB1_3 Depth=1
	v_cvt_f32_u32_e32 v7, v1
	v_cmp_eq_u32_e64 s[6:7], v6, v22
	v_cmp_eq_u32_e64 s[8:9], v6, v23
	s_and_b64 s[10:11], s[4:5], s[6:7]
	v_sub_f32_e32 v6, v7, v21
	v_mul_f32_e32 v7, v33, v6
	v_sub_f32_e32 v5, v24, v5
	v_cndmask_b32_e64 v7, 0, v7, s[10:11]
	v_mul_f32_e32 v8, v33, v5
	s_and_b64 s[10:11], s[4:5], s[8:9]
	v_cndmask_b32_e64 v7, v7, v8, s[10:11]
	v_mul_f32_e32 v6, v32, v6
	s_and_b64 s[6:7], s[2:3], s[6:7]
	;; [unrolled: 3-line block ×3, first 2 shown]
	v_cndmask_b32_e64 v7, v6, v5, s[6:7]
.LBB1_14:                               ;   in Loop: Header=BB1_3 Depth=1
	s_or_b64 exec, exec, s[48:49]
	v_ashrrev_i32_e32 v5, 31, v4
	v_lshlrev_b64 v[5:6], 2, v[4:5]
	v_mov_b32_e32 v8, s37
	v_add_co_u32_e64 v5, s[6:7], s36, v5
	v_addc_co_u32_e64 v6, s[6:7], v8, v6, s[6:7]
	global_load_dword v8, v[5:6], off offset:-4
	v_mul_f32_e32 v34, v20, v7
	s_mov_b64 s[8:9], 0
.LBB1_15:                               ;   Parent Loop BB1_3 Depth=1
                                        ; =>  This Inner Loop Header: Depth=2
	s_waitcnt vmcnt(0)
	v_add_f32_e32 v7, v8, v34
	global_atomic_cmpswap v7, v[5:6], v[7:8], off offset:-4 glc
	s_waitcnt vmcnt(0)
	v_cmp_eq_u32_e64 s[6:7], v7, v8
	s_or_b64 s[8:9], s[6:7], s[8:9]
	v_mov_b32_e32 v8, v7
	s_andn2_b64 exec, exec, s[8:9]
	s_cbranch_execnz .LBB1_15
.LBB1_16:                               ;   in Loop: Header=BB1_3 Depth=1
	s_or_b64 exec, exec, s[46:47]
	v_cmp_gt_i32_e64 s[6:7], 0, v1
	v_cmp_le_i32_e64 s[8:9], s14, v1
	s_or_b64 s[6:7], s[6:7], s[8:9]
	s_nor_b64 s[6:7], s[6:7], s[44:45]
	s_and_saveexec_b64 s[46:47], s[6:7]
	s_cbranch_execz .LBB1_22
; %bb.17:                               ;   in Loop: Header=BB1_3 Depth=1
	v_cvt_f32_u32_e32 v5, v1
	v_sub_f32_e32 v6, v21, v5
	v_cmp_lt_f32_e64 s[6:7], |v6|, 1.0
	s_and_b64 exec, exec, s[6:7]
	s_cbranch_execz .LBB1_22
; %bb.18:                               ;   in Loop: Header=BB1_3 Depth=1
	s_or_b64 s[6:7], vcc, s[40:41]
	s_nor_b64 s[6:7], s[6:7], s[0:1]
	v_mov_b32_e32 v7, 0
	s_and_saveexec_b64 s[48:49], s[6:7]
	s_cbranch_execz .LBB1_20
; %bb.19:                               ;   in Loop: Header=BB1_3 Depth=1
	v_add_u32_e32 v6, 1, v1
	v_cvt_f32_u32_e32 v6, v6
	v_cmp_eq_u32_e64 s[6:7], v1, v22
	v_cmp_eq_u32_e64 s[8:9], v23, v1
	s_and_b64 s[10:11], s[4:5], s[6:7]
	v_sub_f32_e32 v6, v6, v21
	v_mul_f32_e32 v7, v33, v6
	v_sub_f32_e32 v5, v24, v5
	v_cndmask_b32_e64 v7, 0, v7, s[10:11]
	v_mul_f32_e32 v8, v33, v5
	s_and_b64 s[10:11], s[4:5], s[8:9]
	v_cndmask_b32_e64 v7, v7, v8, s[10:11]
	v_mul_f32_e32 v6, v32, v6
	s_and_b64 s[6:7], s[2:3], s[6:7]
	;; [unrolled: 3-line block ×3, first 2 shown]
	v_cndmask_b32_e64 v7, v6, v5, s[6:7]
.LBB1_20:                               ;   in Loop: Header=BB1_3 Depth=1
	s_or_b64 exec, exec, s[48:49]
	v_ashrrev_i32_e32 v5, 31, v4
	v_lshlrev_b64 v[5:6], 2, v[4:5]
	v_mov_b32_e32 v8, s37
	v_add_co_u32_e64 v5, s[6:7], s36, v5
	v_addc_co_u32_e64 v6, s[6:7], v8, v6, s[6:7]
	global_load_dword v8, v[5:6], off
	v_mul_f32_e32 v34, v20, v7
	s_mov_b64 s[8:9], 0
.LBB1_21:                               ;   Parent Loop BB1_3 Depth=1
                                        ; =>  This Inner Loop Header: Depth=2
	s_waitcnt vmcnt(0)
	v_add_f32_e32 v7, v8, v34
	global_atomic_cmpswap v7, v[5:6], v[7:8], off glc
	s_waitcnt vmcnt(0)
	v_cmp_eq_u32_e64 s[6:7], v7, v8
	s_or_b64 s[8:9], s[6:7], s[8:9]
	v_mov_b32_e32 v8, v7
	s_andn2_b64 exec, exec, s[8:9]
	s_cbranch_execnz .LBB1_21
.LBB1_22:                               ;   in Loop: Header=BB1_3 Depth=1
	s_or_b64 exec, exec, s[46:47]
	v_add_u32_e32 v5, 1, v1
	v_cmp_gt_i32_e64 s[6:7], -1, v1
	v_cmp_le_i32_e64 s[8:9], s14, v5
	s_or_b64 s[6:7], s[6:7], s[8:9]
	s_nor_b64 s[6:7], s[6:7], s[44:45]
	s_and_saveexec_b64 s[46:47], s[6:7]
	s_cbranch_execz .LBB1_28
; %bb.23:                               ;   in Loop: Header=BB1_3 Depth=1
	v_cvt_f32_u32_e32 v6, v5
	v_sub_f32_e32 v7, v21, v6
	v_cmp_lt_f32_e64 s[6:7], |v7|, 1.0
	s_and_b64 exec, exec, s[6:7]
	s_cbranch_execz .LBB1_28
; %bb.24:                               ;   in Loop: Header=BB1_3 Depth=1
	s_or_b64 s[6:7], vcc, s[40:41]
	s_nor_b64 s[6:7], s[6:7], s[0:1]
	v_mov_b32_e32 v7, 0
	s_and_saveexec_b64 s[48:49], s[6:7]
	s_cbranch_execz .LBB1_26
; %bb.25:                               ;   in Loop: Header=BB1_3 Depth=1
	v_add_u32_e32 v7, 2, v1
	v_cvt_f32_u32_e32 v7, v7
	v_cmp_eq_u32_e64 s[6:7], v5, v22
	v_cmp_eq_u32_e64 s[8:9], v1, v22
	s_and_b64 s[10:11], s[4:5], s[6:7]
	v_sub_f32_e32 v5, v7, v21
	v_mul_f32_e32 v7, v33, v5
	v_sub_f32_e32 v6, v24, v6
	v_cndmask_b32_e64 v7, 0, v7, s[10:11]
	v_mul_f32_e32 v8, v33, v6
	s_and_b64 s[10:11], s[4:5], s[8:9]
	v_cndmask_b32_e64 v7, v7, v8, s[10:11]
	v_mul_f32_e32 v5, v32, v5
	s_and_b64 s[6:7], s[2:3], s[6:7]
	;; [unrolled: 3-line block ×3, first 2 shown]
	v_cndmask_b32_e64 v7, v5, v6, s[6:7]
.LBB1_26:                               ;   in Loop: Header=BB1_3 Depth=1
	s_or_b64 exec, exec, s[48:49]
	v_ashrrev_i32_e32 v5, 31, v4
	v_lshlrev_b64 v[5:6], 2, v[4:5]
	v_mov_b32_e32 v8, s37
	v_add_co_u32_e64 v5, s[6:7], s36, v5
	v_addc_co_u32_e64 v6, s[6:7], v8, v6, s[6:7]
	global_load_dword v8, v[5:6], off offset:4
	v_mul_f32_e32 v34, v20, v7
	s_mov_b64 s[8:9], 0
.LBB1_27:                               ;   Parent Loop BB1_3 Depth=1
                                        ; =>  This Inner Loop Header: Depth=2
	s_waitcnt vmcnt(0)
	v_add_f32_e32 v7, v8, v34
	global_atomic_cmpswap v7, v[5:6], v[7:8], off offset:4 glc
	s_waitcnt vmcnt(0)
	v_cmp_eq_u32_e64 s[6:7], v7, v8
	s_or_b64 s[8:9], s[6:7], s[8:9]
	v_mov_b32_e32 v8, v7
	s_andn2_b64 exec, exec, s[8:9]
	s_cbranch_execnz .LBB1_27
.LBB1_28:                               ;   in Loop: Header=BB1_3 Depth=1
	s_or_b64 exec, exec, s[46:47]
	v_add_u32_e32 v5, 2, v1
	v_cmp_gt_i32_e64 s[6:7], -2, v1
	v_cmp_le_i32_e64 s[8:9], s14, v5
	s_or_b64 s[6:7], s[6:7], s[8:9]
	s_nor_b64 s[6:7], s[6:7], s[44:45]
	s_and_b64 exec, exec, s[6:7]
	s_cbranch_execz .LBB1_34
; %bb.29:                               ;   in Loop: Header=BB1_3 Depth=1
	v_cvt_f32_u32_e32 v6, v5
	v_sub_f32_e32 v7, v21, v6
	v_cmp_lt_f32_e64 s[6:7], |v7|, 1.0
	s_and_b64 exec, exec, s[6:7]
	s_cbranch_execz .LBB1_34
; %bb.30:                               ;   in Loop: Header=BB1_3 Depth=1
	s_or_b64 s[6:7], vcc, s[40:41]
	s_nor_b64 s[6:7], s[6:7], s[0:1]
	v_mov_b32_e32 v7, 0
	s_and_saveexec_b64 s[44:45], s[6:7]
	s_cbranch_execz .LBB1_32
; %bb.31:                               ;   in Loop: Header=BB1_3 Depth=1
	v_add_u32_e32 v7, 3, v1
	v_cvt_f32_u32_e32 v7, v7
	v_cmp_eq_u32_e64 s[6:7], v5, v22
	v_cmp_eq_u32_e64 s[8:9], v5, v23
	s_and_b64 s[10:11], s[4:5], s[6:7]
	v_sub_f32_e32 v5, v7, v21
	v_mul_f32_e32 v7, v33, v5
	v_sub_f32_e32 v6, v24, v6
	v_cndmask_b32_e64 v7, 0, v7, s[10:11]
	v_mul_f32_e32 v8, v33, v6
	s_and_b64 s[4:5], s[4:5], s[8:9]
	v_cndmask_b32_e64 v7, v7, v8, s[4:5]
	v_mul_f32_e32 v5, v32, v5
	s_and_b64 s[4:5], s[2:3], s[6:7]
	;; [unrolled: 3-line block ×3, first 2 shown]
	v_cndmask_b32_e64 v7, v5, v6, s[2:3]
.LBB1_32:                               ;   in Loop: Header=BB1_3 Depth=1
	s_or_b64 exec, exec, s[44:45]
	v_ashrrev_i32_e32 v5, 31, v4
	v_lshlrev_b64 v[5:6], 2, v[4:5]
	v_mov_b32_e32 v8, s37
	v_add_co_u32_e64 v5, s[2:3], s36, v5
	v_addc_co_u32_e64 v6, s[2:3], v8, v6, s[2:3]
	global_load_dword v8, v[5:6], off offset:8
	v_mul_f32_e32 v32, v20, v7
	s_mov_b64 s[4:5], 0
.LBB1_33:                               ;   Parent Loop BB1_3 Depth=1
                                        ; =>  This Inner Loop Header: Depth=2
	s_waitcnt vmcnt(0)
	v_add_f32_e32 v7, v8, v32
	global_atomic_cmpswap v7, v[5:6], v[7:8], off offset:8 glc
	s_waitcnt vmcnt(0)
	v_cmp_eq_u32_e64 s[2:3], v7, v8
	s_or_b64 s[4:5], s[2:3], s[4:5]
	v_mov_b32_e32 v8, v7
	s_andn2_b64 exec, exec, s[4:5]
	s_cbranch_execnz .LBB1_33
.LBB1_34:                               ;   in Loop: Header=BB1_3 Depth=1
	s_or_b64 exec, exec, s[42:43]
	v_cvt_f32_u32_e32 v32, v2
	v_cmp_lt_i32_e64 s[2:3], 0, v2
	v_cmp_ge_i32_e64 s[4:5], s13, v2
	s_and_b64 s[2:3], s[2:3], s[4:5]
	s_and_saveexec_b64 s[42:43], s[2:3]
	s_cbranch_execz .LBB1_65
; %bb.35:                               ;   in Loop: Header=BB1_3 Depth=1
	v_sub_f32_e32 v5, v25, v31
	v_cmp_gt_i32_e64 s[6:7], 2, v1
	v_cmp_le_i32_e64 s[8:9], s14, v26
	v_cmp_nlt_f32_e64 s[44:45], |v5|, 1.0
	s_or_b64 s[6:7], s[6:7], s[8:9]
	v_add_u32_e32 v4, s14, v4
	v_cmp_eq_u32_e64 s[4:5], v30, v27
	v_sub_f32_e32 v33, v32, v25
	v_cmp_eq_u32_e64 s[2:3], v30, v28
	v_sub_f32_e32 v30, v29, v31
	s_nor_b64 s[6:7], s[6:7], s[44:45]
	s_and_saveexec_b64 s[46:47], s[6:7]
	s_cbranch_execz .LBB1_41
; %bb.36:                               ;   in Loop: Header=BB1_3 Depth=1
	v_cvt_f32_u32_e32 v5, v26
	v_sub_f32_e32 v6, v21, v5
	v_cmp_lt_f32_e64 s[6:7], |v6|, 1.0
	s_and_b64 exec, exec, s[6:7]
	s_cbranch_execz .LBB1_41
; %bb.37:                               ;   in Loop: Header=BB1_3 Depth=1
	s_or_b64 s[6:7], vcc, s[40:41]
	s_nor_b64 s[6:7], s[6:7], s[0:1]
	v_mov_b32_e32 v7, 0
	s_and_saveexec_b64 s[48:49], s[6:7]
	s_cbranch_execz .LBB1_39
; %bb.38:                               ;   in Loop: Header=BB1_3 Depth=1
	v_add_u32_e32 v6, -1, v1
	v_cvt_f32_u32_e32 v6, v6
	v_cmp_eq_u32_e64 s[6:7], v26, v22
	v_cmp_eq_u32_e64 s[8:9], v26, v23
	s_and_b64 s[10:11], s[4:5], s[6:7]
	v_sub_f32_e32 v6, v6, v21
	v_mul_f32_e32 v7, v33, v6
	v_sub_f32_e32 v5, v24, v5
	v_cndmask_b32_e64 v7, 0, v7, s[10:11]
	v_mul_f32_e32 v8, v33, v5
	s_and_b64 s[10:11], s[4:5], s[8:9]
	v_cndmask_b32_e64 v7, v7, v8, s[10:11]
	v_mul_f32_e32 v6, v30, v6
	s_and_b64 s[6:7], s[2:3], s[6:7]
	;; [unrolled: 3-line block ×3, first 2 shown]
	v_cndmask_b32_e64 v7, v6, v5, s[6:7]
.LBB1_39:                               ;   in Loop: Header=BB1_3 Depth=1
	s_or_b64 exec, exec, s[48:49]
	v_ashrrev_i32_e32 v5, 31, v4
	v_lshlrev_b64 v[5:6], 2, v[4:5]
	v_mov_b32_e32 v8, s37
	v_add_co_u32_e64 v5, s[6:7], s36, v5
	v_addc_co_u32_e64 v6, s[6:7], v8, v6, s[6:7]
	global_load_dword v8, v[5:6], off offset:-8
	v_mul_f32_e32 v31, v20, v7
	s_mov_b64 s[8:9], 0
.LBB1_40:                               ;   Parent Loop BB1_3 Depth=1
                                        ; =>  This Inner Loop Header: Depth=2
	s_waitcnt vmcnt(0)
	v_add_f32_e32 v7, v8, v31
	global_atomic_cmpswap v7, v[5:6], v[7:8], off offset:-8 glc
	s_waitcnt vmcnt(0)
	v_cmp_eq_u32_e64 s[6:7], v7, v8
	s_or_b64 s[8:9], s[6:7], s[8:9]
	v_mov_b32_e32 v8, v7
	s_andn2_b64 exec, exec, s[8:9]
	s_cbranch_execnz .LBB1_40
.LBB1_41:                               ;   in Loop: Header=BB1_3 Depth=1
	s_or_b64 exec, exec, s[46:47]
	v_cmp_gt_i32_e64 s[6:7], 1, v1
	v_cmp_lt_i32_e64 s[8:9], s14, v1
	s_or_b64 s[6:7], s[6:7], s[8:9]
	s_nor_b64 s[6:7], s[6:7], s[44:45]
	s_and_saveexec_b64 s[46:47], s[6:7]
	s_cbranch_execz .LBB1_47
; %bb.42:                               ;   in Loop: Header=BB1_3 Depth=1
	v_add_u32_e32 v6, -1, v1
	v_cvt_f32_u32_e32 v5, v6
	v_sub_f32_e32 v7, v21, v5
	v_cmp_lt_f32_e64 s[6:7], |v7|, 1.0
	s_and_b64 exec, exec, s[6:7]
	s_cbranch_execz .LBB1_47
; %bb.43:                               ;   in Loop: Header=BB1_3 Depth=1
	s_or_b64 s[6:7], vcc, s[40:41]
	s_nor_b64 s[6:7], s[6:7], s[0:1]
	v_mov_b32_e32 v7, 0
	s_and_saveexec_b64 s[48:49], s[6:7]
	s_cbranch_execz .LBB1_45
; %bb.44:                               ;   in Loop: Header=BB1_3 Depth=1
	v_cvt_f32_u32_e32 v7, v1
	v_cmp_eq_u32_e64 s[6:7], v6, v22
	v_cmp_eq_u32_e64 s[8:9], v6, v23
	s_and_b64 s[10:11], s[4:5], s[6:7]
	v_sub_f32_e32 v6, v7, v21
	v_mul_f32_e32 v7, v33, v6
	v_sub_f32_e32 v5, v24, v5
	v_cndmask_b32_e64 v7, 0, v7, s[10:11]
	v_mul_f32_e32 v8, v33, v5
	s_and_b64 s[10:11], s[4:5], s[8:9]
	v_cndmask_b32_e64 v7, v7, v8, s[10:11]
	v_mul_f32_e32 v6, v30, v6
	s_and_b64 s[6:7], s[2:3], s[6:7]
	;; [unrolled: 3-line block ×3, first 2 shown]
	v_cndmask_b32_e64 v7, v6, v5, s[6:7]
.LBB1_45:                               ;   in Loop: Header=BB1_3 Depth=1
	s_or_b64 exec, exec, s[48:49]
	v_ashrrev_i32_e32 v5, 31, v4
	v_lshlrev_b64 v[5:6], 2, v[4:5]
	v_mov_b32_e32 v8, s37
	v_add_co_u32_e64 v5, s[6:7], s36, v5
	v_addc_co_u32_e64 v6, s[6:7], v8, v6, s[6:7]
	global_load_dword v8, v[5:6], off offset:-4
	v_mul_f32_e32 v31, v20, v7
	s_mov_b64 s[8:9], 0
.LBB1_46:                               ;   Parent Loop BB1_3 Depth=1
                                        ; =>  This Inner Loop Header: Depth=2
	s_waitcnt vmcnt(0)
	v_add_f32_e32 v7, v8, v31
	global_atomic_cmpswap v7, v[5:6], v[7:8], off offset:-4 glc
	s_waitcnt vmcnt(0)
	v_cmp_eq_u32_e64 s[6:7], v7, v8
	s_or_b64 s[8:9], s[6:7], s[8:9]
	v_mov_b32_e32 v8, v7
	s_andn2_b64 exec, exec, s[8:9]
	s_cbranch_execnz .LBB1_46
.LBB1_47:                               ;   in Loop: Header=BB1_3 Depth=1
	s_or_b64 exec, exec, s[46:47]
	v_cmp_gt_i32_e64 s[6:7], 0, v1
	v_cmp_le_i32_e64 s[8:9], s14, v1
	s_or_b64 s[6:7], s[6:7], s[8:9]
	s_nor_b64 s[6:7], s[6:7], s[44:45]
	s_and_saveexec_b64 s[46:47], s[6:7]
	s_cbranch_execz .LBB1_53
; %bb.48:                               ;   in Loop: Header=BB1_3 Depth=1
	v_cvt_f32_u32_e32 v5, v1
	v_sub_f32_e32 v6, v21, v5
	v_cmp_lt_f32_e64 s[6:7], |v6|, 1.0
	s_and_b64 exec, exec, s[6:7]
	s_cbranch_execz .LBB1_53
; %bb.49:                               ;   in Loop: Header=BB1_3 Depth=1
	s_or_b64 s[6:7], vcc, s[40:41]
	s_nor_b64 s[6:7], s[6:7], s[0:1]
	v_mov_b32_e32 v7, 0
	s_and_saveexec_b64 s[48:49], s[6:7]
	s_cbranch_execz .LBB1_51
; %bb.50:                               ;   in Loop: Header=BB1_3 Depth=1
	v_add_u32_e32 v6, 1, v1
	v_cvt_f32_u32_e32 v6, v6
	v_cmp_eq_u32_e64 s[6:7], v1, v22
	v_cmp_eq_u32_e64 s[8:9], v23, v1
	s_and_b64 s[10:11], s[4:5], s[6:7]
	v_sub_f32_e32 v6, v6, v21
	v_mul_f32_e32 v7, v33, v6
	v_sub_f32_e32 v5, v24, v5
	v_cndmask_b32_e64 v7, 0, v7, s[10:11]
	v_mul_f32_e32 v8, v33, v5
	s_and_b64 s[10:11], s[4:5], s[8:9]
	v_cndmask_b32_e64 v7, v7, v8, s[10:11]
	v_mul_f32_e32 v6, v30, v6
	s_and_b64 s[6:7], s[2:3], s[6:7]
	;; [unrolled: 3-line block ×3, first 2 shown]
	v_cndmask_b32_e64 v7, v6, v5, s[6:7]
.LBB1_51:                               ;   in Loop: Header=BB1_3 Depth=1
	s_or_b64 exec, exec, s[48:49]
	v_ashrrev_i32_e32 v5, 31, v4
	v_lshlrev_b64 v[5:6], 2, v[4:5]
	v_mov_b32_e32 v8, s37
	v_add_co_u32_e64 v5, s[6:7], s36, v5
	v_addc_co_u32_e64 v6, s[6:7], v8, v6, s[6:7]
	global_load_dword v8, v[5:6], off
	v_mul_f32_e32 v31, v20, v7
	s_mov_b64 s[8:9], 0
.LBB1_52:                               ;   Parent Loop BB1_3 Depth=1
                                        ; =>  This Inner Loop Header: Depth=2
	s_waitcnt vmcnt(0)
	v_add_f32_e32 v7, v8, v31
	global_atomic_cmpswap v7, v[5:6], v[7:8], off glc
	s_waitcnt vmcnt(0)
	v_cmp_eq_u32_e64 s[6:7], v7, v8
	s_or_b64 s[8:9], s[6:7], s[8:9]
	v_mov_b32_e32 v8, v7
	s_andn2_b64 exec, exec, s[8:9]
	s_cbranch_execnz .LBB1_52
.LBB1_53:                               ;   in Loop: Header=BB1_3 Depth=1
	s_or_b64 exec, exec, s[46:47]
	v_add_u32_e32 v5, 1, v1
	v_cmp_gt_i32_e64 s[6:7], -1, v1
	v_cmp_le_i32_e64 s[8:9], s14, v5
	s_or_b64 s[6:7], s[6:7], s[8:9]
	s_nor_b64 s[6:7], s[6:7], s[44:45]
	s_and_saveexec_b64 s[46:47], s[6:7]
	s_cbranch_execz .LBB1_59
; %bb.54:                               ;   in Loop: Header=BB1_3 Depth=1
	v_cvt_f32_u32_e32 v6, v5
	v_sub_f32_e32 v7, v21, v6
	v_cmp_lt_f32_e64 s[6:7], |v7|, 1.0
	s_and_b64 exec, exec, s[6:7]
	s_cbranch_execz .LBB1_59
; %bb.55:                               ;   in Loop: Header=BB1_3 Depth=1
	s_or_b64 s[6:7], vcc, s[40:41]
	s_nor_b64 s[6:7], s[6:7], s[0:1]
	v_mov_b32_e32 v7, 0
	s_and_saveexec_b64 s[48:49], s[6:7]
	s_cbranch_execz .LBB1_57
; %bb.56:                               ;   in Loop: Header=BB1_3 Depth=1
	v_add_u32_e32 v7, 2, v1
	v_cvt_f32_u32_e32 v7, v7
	v_cmp_eq_u32_e64 s[6:7], v5, v22
	v_cmp_eq_u32_e64 s[8:9], v1, v22
	s_and_b64 s[10:11], s[4:5], s[6:7]
	v_sub_f32_e32 v5, v7, v21
	v_mul_f32_e32 v7, v33, v5
	v_sub_f32_e32 v6, v24, v6
	v_cndmask_b32_e64 v7, 0, v7, s[10:11]
	v_mul_f32_e32 v8, v33, v6
	s_and_b64 s[10:11], s[4:5], s[8:9]
	v_cndmask_b32_e64 v7, v7, v8, s[10:11]
	v_mul_f32_e32 v5, v30, v5
	s_and_b64 s[6:7], s[2:3], s[6:7]
	;; [unrolled: 3-line block ×3, first 2 shown]
	v_cndmask_b32_e64 v7, v5, v6, s[6:7]
.LBB1_57:                               ;   in Loop: Header=BB1_3 Depth=1
	s_or_b64 exec, exec, s[48:49]
	v_ashrrev_i32_e32 v5, 31, v4
	v_lshlrev_b64 v[5:6], 2, v[4:5]
	v_mov_b32_e32 v8, s37
	v_add_co_u32_e64 v5, s[6:7], s36, v5
	v_addc_co_u32_e64 v6, s[6:7], v8, v6, s[6:7]
	global_load_dword v8, v[5:6], off offset:4
	v_mul_f32_e32 v31, v20, v7
	s_mov_b64 s[8:9], 0
.LBB1_58:                               ;   Parent Loop BB1_3 Depth=1
                                        ; =>  This Inner Loop Header: Depth=2
	s_waitcnt vmcnt(0)
	v_add_f32_e32 v7, v8, v31
	global_atomic_cmpswap v7, v[5:6], v[7:8], off offset:4 glc
	s_waitcnt vmcnt(0)
	v_cmp_eq_u32_e64 s[6:7], v7, v8
	s_or_b64 s[8:9], s[6:7], s[8:9]
	v_mov_b32_e32 v8, v7
	s_andn2_b64 exec, exec, s[8:9]
	s_cbranch_execnz .LBB1_58
.LBB1_59:                               ;   in Loop: Header=BB1_3 Depth=1
	s_or_b64 exec, exec, s[46:47]
	v_add_u32_e32 v5, 2, v1
	v_cmp_gt_i32_e64 s[6:7], -2, v1
	v_cmp_le_i32_e64 s[8:9], s14, v5
	s_or_b64 s[6:7], s[6:7], s[8:9]
	s_nor_b64 s[6:7], s[6:7], s[44:45]
	s_and_b64 exec, exec, s[6:7]
	s_cbranch_execz .LBB1_65
; %bb.60:                               ;   in Loop: Header=BB1_3 Depth=1
	v_cvt_f32_u32_e32 v6, v5
	v_sub_f32_e32 v7, v21, v6
	v_cmp_lt_f32_e64 s[6:7], |v7|, 1.0
	s_and_b64 exec, exec, s[6:7]
	s_cbranch_execz .LBB1_65
; %bb.61:                               ;   in Loop: Header=BB1_3 Depth=1
	s_or_b64 s[6:7], vcc, s[40:41]
	s_nor_b64 s[6:7], s[6:7], s[0:1]
	v_mov_b32_e32 v8, 0
	s_and_saveexec_b64 s[44:45], s[6:7]
	s_cbranch_execz .LBB1_63
; %bb.62:                               ;   in Loop: Header=BB1_3 Depth=1
	v_add_u32_e32 v7, 3, v1
	v_cvt_f32_u32_e32 v7, v7
	v_cmp_eq_u32_e64 s[6:7], v5, v22
	v_cmp_eq_u32_e64 s[8:9], v5, v23
	s_and_b64 s[10:11], s[4:5], s[6:7]
	v_sub_f32_e32 v5, v7, v21
	v_mul_f32_e32 v7, v33, v5
	v_sub_f32_e32 v6, v24, v6
	v_cndmask_b32_e64 v7, 0, v7, s[10:11]
	v_mul_f32_e32 v8, v33, v6
	s_and_b64 s[4:5], s[4:5], s[8:9]
	v_cndmask_b32_e64 v7, v7, v8, s[4:5]
	v_mul_f32_e32 v5, v30, v5
	s_and_b64 s[4:5], s[2:3], s[6:7]
	v_cndmask_b32_e64 v5, v7, v5, s[4:5]
	v_mul_f32_e32 v6, v30, v6
	s_and_b64 s[2:3], s[2:3], s[8:9]
	v_cndmask_b32_e64 v8, v5, v6, s[2:3]
.LBB1_63:                               ;   in Loop: Header=BB1_3 Depth=1
	s_or_b64 exec, exec, s[44:45]
	v_ashrrev_i32_e32 v5, 31, v4
	v_lshlrev_b64 v[4:5], 2, v[4:5]
	v_mov_b32_e32 v6, s37
	v_add_co_u32_e64 v4, s[2:3], s36, v4
	v_addc_co_u32_e64 v5, s[2:3], v6, v5, s[2:3]
	global_load_dword v7, v[4:5], off offset:8
	v_mul_f32_e32 v8, v20, v8
	s_mov_b64 s[4:5], 0
.LBB1_64:                               ;   Parent Loop BB1_3 Depth=1
                                        ; =>  This Inner Loop Header: Depth=2
	s_waitcnt vmcnt(0)
	v_add_f32_e32 v6, v7, v8
	global_atomic_cmpswap v6, v[4:5], v[6:7], off offset:8 glc
	s_waitcnt vmcnt(0)
	v_cmp_eq_u32_e64 s[2:3], v6, v7
	s_or_b64 s[4:5], s[2:3], s[4:5]
	v_mov_b32_e32 v7, v6
	s_andn2_b64 exec, exec, s[4:5]
	s_cbranch_execnz .LBB1_64
.LBB1_65:                               ;   in Loop: Header=BB1_3 Depth=1
	s_or_b64 exec, exec, s[42:43]
	v_add_u32_e32 v33, 1, v2
	v_mad_u64_u32 v[3:4], s[4:5], v3, s14, v[1:2]
	v_cvt_f32_u32_e32 v31, v33
	v_cmp_lt_i32_e64 s[2:3], -1, v2
	v_cmp_gt_i32_e64 s[4:5], s13, v2
	s_and_b64 s[4:5], s[2:3], s[4:5]
	v_cmp_eq_u32_e64 s[2:3], v2, v27
	s_and_saveexec_b64 s[42:43], s[4:5]
	s_cbranch_execz .LBB1_96
; %bb.66:                               ;   in Loop: Header=BB1_3 Depth=1
	v_sub_f32_e32 v4, v25, v32
	v_cmp_gt_i32_e64 s[6:7], 2, v1
	v_cmp_le_i32_e64 s[8:9], s14, v26
	v_cmp_nlt_f32_e64 s[44:45], |v4|, 1.0
	s_or_b64 s[6:7], s[6:7], s[8:9]
	v_sub_f32_e32 v30, v31, v25
	v_cmp_eq_u32_e64 s[4:5], v28, v2
	v_sub_f32_e32 v8, v29, v32
	s_nor_b64 s[6:7], s[6:7], s[44:45]
	s_and_saveexec_b64 s[46:47], s[6:7]
	s_cbranch_execz .LBB1_72
; %bb.67:                               ;   in Loop: Header=BB1_3 Depth=1
	v_cvt_f32_u32_e32 v4, v26
	v_sub_f32_e32 v5, v21, v4
	v_cmp_lt_f32_e64 s[6:7], |v5|, 1.0
	s_and_b64 exec, exec, s[6:7]
	s_cbranch_execz .LBB1_72
; %bb.68:                               ;   in Loop: Header=BB1_3 Depth=1
	s_or_b64 s[6:7], vcc, s[40:41]
	s_nor_b64 s[6:7], s[6:7], s[0:1]
	v_mov_b32_e32 v6, 0
	s_and_saveexec_b64 s[48:49], s[6:7]
	s_cbranch_execz .LBB1_70
; %bb.69:                               ;   in Loop: Header=BB1_3 Depth=1
	v_add_u32_e32 v5, -1, v1
	v_cvt_f32_u32_e32 v5, v5
	v_cmp_eq_u32_e64 s[6:7], v26, v22
	v_cmp_eq_u32_e64 s[8:9], v26, v23
	s_and_b64 s[10:11], s[2:3], s[6:7]
	v_sub_f32_e32 v5, v5, v21
	v_mul_f32_e32 v6, v30, v5
	v_sub_f32_e32 v4, v24, v4
	v_cndmask_b32_e64 v6, 0, v6, s[10:11]
	v_mul_f32_e32 v7, v30, v4
	s_and_b64 s[10:11], s[2:3], s[8:9]
	v_cndmask_b32_e64 v6, v6, v7, s[10:11]
	v_mul_f32_e32 v5, v8, v5
	s_and_b64 s[6:7], s[4:5], s[6:7]
	;; [unrolled: 3-line block ×3, first 2 shown]
	v_cndmask_b32_e64 v6, v5, v4, s[6:7]
.LBB1_70:                               ;   in Loop: Header=BB1_3 Depth=1
	s_or_b64 exec, exec, s[48:49]
	v_ashrrev_i32_e32 v4, 31, v3
	v_lshlrev_b64 v[4:5], 2, v[3:4]
	v_mov_b32_e32 v7, s37
	v_add_co_u32_e64 v4, s[6:7], s36, v4
	v_addc_co_u32_e64 v5, s[6:7], v7, v5, s[6:7]
	global_load_dword v7, v[4:5], off offset:-8
	v_mul_f32_e32 v32, v20, v6
	s_mov_b64 s[8:9], 0
.LBB1_71:                               ;   Parent Loop BB1_3 Depth=1
                                        ; =>  This Inner Loop Header: Depth=2
	s_waitcnt vmcnt(0)
	v_add_f32_e32 v6, v7, v32
	global_atomic_cmpswap v6, v[4:5], v[6:7], off offset:-8 glc
	s_waitcnt vmcnt(0)
	v_cmp_eq_u32_e64 s[6:7], v6, v7
	s_or_b64 s[8:9], s[6:7], s[8:9]
	v_mov_b32_e32 v7, v6
	s_andn2_b64 exec, exec, s[8:9]
	s_cbranch_execnz .LBB1_71
.LBB1_72:                               ;   in Loop: Header=BB1_3 Depth=1
	s_or_b64 exec, exec, s[46:47]
	v_cmp_gt_i32_e64 s[6:7], 1, v1
	v_cmp_lt_i32_e64 s[8:9], s14, v1
	s_or_b64 s[6:7], s[6:7], s[8:9]
	s_nor_b64 s[6:7], s[6:7], s[44:45]
	s_and_saveexec_b64 s[46:47], s[6:7]
	s_cbranch_execz .LBB1_78
; %bb.73:                               ;   in Loop: Header=BB1_3 Depth=1
	v_add_u32_e32 v5, -1, v1
	v_cvt_f32_u32_e32 v4, v5
	v_sub_f32_e32 v6, v21, v4
	v_cmp_lt_f32_e64 s[6:7], |v6|, 1.0
	s_and_b64 exec, exec, s[6:7]
	s_cbranch_execz .LBB1_78
; %bb.74:                               ;   in Loop: Header=BB1_3 Depth=1
	s_or_b64 s[6:7], vcc, s[40:41]
	s_nor_b64 s[6:7], s[6:7], s[0:1]
	v_mov_b32_e32 v6, 0
	s_and_saveexec_b64 s[48:49], s[6:7]
	s_cbranch_execz .LBB1_76
; %bb.75:                               ;   in Loop: Header=BB1_3 Depth=1
	v_cvt_f32_u32_e32 v6, v1
	v_cmp_eq_u32_e64 s[6:7], v5, v22
	v_cmp_eq_u32_e64 s[8:9], v5, v23
	s_and_b64 s[10:11], s[2:3], s[6:7]
	v_sub_f32_e32 v5, v6, v21
	v_mul_f32_e32 v6, v30, v5
	v_sub_f32_e32 v4, v24, v4
	v_cndmask_b32_e64 v6, 0, v6, s[10:11]
	v_mul_f32_e32 v7, v30, v4
	s_and_b64 s[10:11], s[2:3], s[8:9]
	v_cndmask_b32_e64 v6, v6, v7, s[10:11]
	v_mul_f32_e32 v5, v8, v5
	s_and_b64 s[6:7], s[4:5], s[6:7]
	;; [unrolled: 3-line block ×3, first 2 shown]
	v_cndmask_b32_e64 v6, v5, v4, s[6:7]
.LBB1_76:                               ;   in Loop: Header=BB1_3 Depth=1
	s_or_b64 exec, exec, s[48:49]
	v_ashrrev_i32_e32 v4, 31, v3
	v_lshlrev_b64 v[4:5], 2, v[3:4]
	v_mov_b32_e32 v7, s37
	v_add_co_u32_e64 v4, s[6:7], s36, v4
	v_addc_co_u32_e64 v5, s[6:7], v7, v5, s[6:7]
	global_load_dword v7, v[4:5], off offset:-4
	v_mul_f32_e32 v32, v20, v6
	s_mov_b64 s[8:9], 0
.LBB1_77:                               ;   Parent Loop BB1_3 Depth=1
                                        ; =>  This Inner Loop Header: Depth=2
	s_waitcnt vmcnt(0)
	v_add_f32_e32 v6, v7, v32
	global_atomic_cmpswap v6, v[4:5], v[6:7], off offset:-4 glc
	s_waitcnt vmcnt(0)
	v_cmp_eq_u32_e64 s[6:7], v6, v7
	s_or_b64 s[8:9], s[6:7], s[8:9]
	v_mov_b32_e32 v7, v6
	s_andn2_b64 exec, exec, s[8:9]
	s_cbranch_execnz .LBB1_77
.LBB1_78:                               ;   in Loop: Header=BB1_3 Depth=1
	s_or_b64 exec, exec, s[46:47]
	v_cmp_gt_i32_e64 s[6:7], 0, v1
	v_cmp_le_i32_e64 s[8:9], s14, v1
	s_or_b64 s[6:7], s[6:7], s[8:9]
	s_nor_b64 s[6:7], s[6:7], s[44:45]
	s_and_saveexec_b64 s[46:47], s[6:7]
	s_cbranch_execz .LBB1_84
; %bb.79:                               ;   in Loop: Header=BB1_3 Depth=1
	v_cvt_f32_u32_e32 v4, v1
	v_sub_f32_e32 v5, v21, v4
	v_cmp_lt_f32_e64 s[6:7], |v5|, 1.0
	s_and_b64 exec, exec, s[6:7]
	s_cbranch_execz .LBB1_84
; %bb.80:                               ;   in Loop: Header=BB1_3 Depth=1
	s_or_b64 s[6:7], vcc, s[40:41]
	s_nor_b64 s[6:7], s[6:7], s[0:1]
	v_mov_b32_e32 v6, 0
	s_and_saveexec_b64 s[48:49], s[6:7]
	s_cbranch_execz .LBB1_82
; %bb.81:                               ;   in Loop: Header=BB1_3 Depth=1
	v_add_u32_e32 v5, 1, v1
	v_cvt_f32_u32_e32 v5, v5
	v_cmp_eq_u32_e64 s[6:7], v1, v22
	v_cmp_eq_u32_e64 s[8:9], v23, v1
	s_and_b64 s[10:11], s[2:3], s[6:7]
	v_sub_f32_e32 v5, v5, v21
	v_mul_f32_e32 v6, v30, v5
	v_sub_f32_e32 v4, v24, v4
	v_cndmask_b32_e64 v6, 0, v6, s[10:11]
	v_mul_f32_e32 v7, v30, v4
	s_and_b64 s[10:11], s[2:3], s[8:9]
	v_cndmask_b32_e64 v6, v6, v7, s[10:11]
	v_mul_f32_e32 v5, v8, v5
	s_and_b64 s[6:7], s[4:5], s[6:7]
	;; [unrolled: 3-line block ×3, first 2 shown]
	v_cndmask_b32_e64 v6, v5, v4, s[6:7]
.LBB1_82:                               ;   in Loop: Header=BB1_3 Depth=1
	s_or_b64 exec, exec, s[48:49]
	v_ashrrev_i32_e32 v4, 31, v3
	v_lshlrev_b64 v[4:5], 2, v[3:4]
	v_mov_b32_e32 v7, s37
	v_add_co_u32_e64 v4, s[6:7], s36, v4
	v_addc_co_u32_e64 v5, s[6:7], v7, v5, s[6:7]
	global_load_dword v7, v[4:5], off
	v_mul_f32_e32 v32, v20, v6
	s_mov_b64 s[8:9], 0
.LBB1_83:                               ;   Parent Loop BB1_3 Depth=1
                                        ; =>  This Inner Loop Header: Depth=2
	s_waitcnt vmcnt(0)
	v_add_f32_e32 v6, v7, v32
	global_atomic_cmpswap v6, v[4:5], v[6:7], off glc
	s_waitcnt vmcnt(0)
	v_cmp_eq_u32_e64 s[6:7], v6, v7
	s_or_b64 s[8:9], s[6:7], s[8:9]
	v_mov_b32_e32 v7, v6
	s_andn2_b64 exec, exec, s[8:9]
	s_cbranch_execnz .LBB1_83
.LBB1_84:                               ;   in Loop: Header=BB1_3 Depth=1
	s_or_b64 exec, exec, s[46:47]
	v_add_u32_e32 v4, 1, v1
	v_cmp_gt_i32_e64 s[6:7], -1, v1
	v_cmp_le_i32_e64 s[8:9], s14, v4
	s_or_b64 s[6:7], s[6:7], s[8:9]
	s_nor_b64 s[6:7], s[6:7], s[44:45]
	s_and_saveexec_b64 s[46:47], s[6:7]
	s_cbranch_execz .LBB1_90
; %bb.85:                               ;   in Loop: Header=BB1_3 Depth=1
	v_cvt_f32_u32_e32 v5, v4
	v_sub_f32_e32 v6, v21, v5
	v_cmp_lt_f32_e64 s[6:7], |v6|, 1.0
	s_and_b64 exec, exec, s[6:7]
	s_cbranch_execz .LBB1_90
; %bb.86:                               ;   in Loop: Header=BB1_3 Depth=1
	s_or_b64 s[6:7], vcc, s[40:41]
	s_nor_b64 s[6:7], s[6:7], s[0:1]
	v_mov_b32_e32 v6, 0
	s_and_saveexec_b64 s[48:49], s[6:7]
	s_cbranch_execz .LBB1_88
; %bb.87:                               ;   in Loop: Header=BB1_3 Depth=1
	v_add_u32_e32 v6, 2, v1
	v_cvt_f32_u32_e32 v6, v6
	v_cmp_eq_u32_e64 s[6:7], v4, v22
	v_cmp_eq_u32_e64 s[8:9], v1, v22
	s_and_b64 s[10:11], s[2:3], s[6:7]
	v_sub_f32_e32 v4, v6, v21
	v_mul_f32_e32 v6, v30, v4
	v_sub_f32_e32 v5, v24, v5
	v_cndmask_b32_e64 v6, 0, v6, s[10:11]
	v_mul_f32_e32 v7, v30, v5
	s_and_b64 s[10:11], s[2:3], s[8:9]
	v_cndmask_b32_e64 v6, v6, v7, s[10:11]
	v_mul_f32_e32 v4, v8, v4
	s_and_b64 s[6:7], s[4:5], s[6:7]
	;; [unrolled: 3-line block ×3, first 2 shown]
	v_cndmask_b32_e64 v6, v4, v5, s[6:7]
.LBB1_88:                               ;   in Loop: Header=BB1_3 Depth=1
	s_or_b64 exec, exec, s[48:49]
	v_ashrrev_i32_e32 v4, 31, v3
	v_lshlrev_b64 v[4:5], 2, v[3:4]
	v_mov_b32_e32 v7, s37
	v_add_co_u32_e64 v4, s[6:7], s36, v4
	v_addc_co_u32_e64 v5, s[6:7], v7, v5, s[6:7]
	global_load_dword v7, v[4:5], off offset:4
	v_mul_f32_e32 v32, v20, v6
	s_mov_b64 s[8:9], 0
.LBB1_89:                               ;   Parent Loop BB1_3 Depth=1
                                        ; =>  This Inner Loop Header: Depth=2
	s_waitcnt vmcnt(0)
	v_add_f32_e32 v6, v7, v32
	global_atomic_cmpswap v6, v[4:5], v[6:7], off offset:4 glc
	s_waitcnt vmcnt(0)
	v_cmp_eq_u32_e64 s[6:7], v6, v7
	s_or_b64 s[8:9], s[6:7], s[8:9]
	v_mov_b32_e32 v7, v6
	s_andn2_b64 exec, exec, s[8:9]
	s_cbranch_execnz .LBB1_89
.LBB1_90:                               ;   in Loop: Header=BB1_3 Depth=1
	s_or_b64 exec, exec, s[46:47]
	v_add_u32_e32 v4, 2, v1
	v_cmp_gt_i32_e64 s[6:7], -2, v1
	v_cmp_le_i32_e64 s[8:9], s14, v4
	s_or_b64 s[6:7], s[6:7], s[8:9]
	s_nor_b64 s[6:7], s[6:7], s[44:45]
	s_and_b64 exec, exec, s[6:7]
	s_cbranch_execz .LBB1_96
; %bb.91:                               ;   in Loop: Header=BB1_3 Depth=1
	v_cvt_f32_u32_e32 v5, v4
	v_sub_f32_e32 v6, v21, v5
	v_cmp_lt_f32_e64 s[6:7], |v6|, 1.0
	s_and_b64 exec, exec, s[6:7]
	s_cbranch_execz .LBB1_96
; %bb.92:                               ;   in Loop: Header=BB1_3 Depth=1
	s_or_b64 s[6:7], vcc, s[40:41]
	s_nor_b64 s[6:7], s[6:7], s[0:1]
	v_mov_b32_e32 v6, 0
	s_and_saveexec_b64 s[44:45], s[6:7]
	s_cbranch_execz .LBB1_94
; %bb.93:                               ;   in Loop: Header=BB1_3 Depth=1
	v_add_u32_e32 v6, 3, v1
	v_cvt_f32_u32_e32 v6, v6
	v_cmp_eq_u32_e64 s[6:7], v4, v22
	v_cmp_eq_u32_e64 s[8:9], v4, v23
	s_and_b64 s[10:11], s[2:3], s[6:7]
	v_sub_f32_e32 v4, v6, v21
	v_mul_f32_e32 v6, v30, v4
	v_sub_f32_e32 v5, v24, v5
	v_cndmask_b32_e64 v6, 0, v6, s[10:11]
	v_mul_f32_e32 v7, v30, v5
	s_and_b64 s[10:11], s[2:3], s[8:9]
	v_cndmask_b32_e64 v6, v6, v7, s[10:11]
	v_mul_f32_e32 v4, v8, v4
	s_and_b64 s[6:7], s[4:5], s[6:7]
	;; [unrolled: 3-line block ×3, first 2 shown]
	v_cndmask_b32_e64 v6, v4, v5, s[4:5]
.LBB1_94:                               ;   in Loop: Header=BB1_3 Depth=1
	s_or_b64 exec, exec, s[44:45]
	v_ashrrev_i32_e32 v4, 31, v3
	v_lshlrev_b64 v[4:5], 2, v[3:4]
	v_mov_b32_e32 v7, s37
	v_add_co_u32_e64 v4, s[4:5], s36, v4
	v_addc_co_u32_e64 v5, s[4:5], v7, v5, s[4:5]
	global_load_dword v7, v[4:5], off offset:8
	v_mul_f32_e32 v8, v20, v6
	s_mov_b64 s[6:7], 0
.LBB1_95:                               ;   Parent Loop BB1_3 Depth=1
                                        ; =>  This Inner Loop Header: Depth=2
	s_waitcnt vmcnt(0)
	v_add_f32_e32 v6, v7, v8
	global_atomic_cmpswap v6, v[4:5], v[6:7], off offset:8 glc
	s_waitcnt vmcnt(0)
	v_cmp_eq_u32_e64 s[4:5], v6, v7
	s_or_b64 s[6:7], s[4:5], s[6:7]
	v_mov_b32_e32 v7, v6
	s_andn2_b64 exec, exec, s[6:7]
	s_cbranch_execnz .LBB1_95
.LBB1_96:                               ;   in Loop: Header=BB1_3 Depth=1
	s_or_b64 exec, exec, s[42:43]
	v_add_u32_e32 v8, 2, v2
	v_cvt_f32_u32_e32 v30, v8
	v_cmp_lt_i32_e64 s[4:5], -2, v2
	v_cmp_gt_i32_e64 s[6:7], s13, v33
	s_and_b64 s[4:5], s[4:5], s[6:7]
	v_add_u32_e32 v3, s14, v3
	s_and_saveexec_b64 s[42:43], s[4:5]
	s_cbranch_execz .LBB1_127
; %bb.97:                               ;   in Loop: Header=BB1_3 Depth=1
	v_sub_f32_e32 v4, v25, v31
	v_cmp_gt_i32_e64 s[6:7], 2, v1
	v_cmp_le_i32_e64 s[8:9], s14, v26
	v_cmp_nlt_f32_e64 s[44:45], |v4|, 1.0
	s_or_b64 s[6:7], s[6:7], s[8:9]
	v_cmp_eq_u32_e64 s[4:5], v33, v27
	v_sub_f32_e32 v32, v30, v25
	v_sub_f32_e32 v31, v29, v31
	s_nor_b64 s[6:7], s[6:7], s[44:45]
	s_and_saveexec_b64 s[46:47], s[6:7]
	s_cbranch_execz .LBB1_103
; %bb.98:                               ;   in Loop: Header=BB1_3 Depth=1
	v_cvt_f32_u32_e32 v4, v26
	v_sub_f32_e32 v5, v21, v4
	v_cmp_lt_f32_e64 s[6:7], |v5|, 1.0
	s_and_b64 exec, exec, s[6:7]
	s_cbranch_execz .LBB1_103
; %bb.99:                               ;   in Loop: Header=BB1_3 Depth=1
	s_or_b64 s[6:7], vcc, s[40:41]
	s_nor_b64 s[6:7], s[6:7], s[0:1]
	v_mov_b32_e32 v6, 0
	s_and_saveexec_b64 s[48:49], s[6:7]
	s_cbranch_execz .LBB1_101
; %bb.100:                              ;   in Loop: Header=BB1_3 Depth=1
	v_add_u32_e32 v5, -1, v1
	v_cvt_f32_u32_e32 v5, v5
	v_cmp_eq_u32_e64 s[6:7], v26, v22
	v_cmp_eq_u32_e64 s[8:9], v26, v23
	s_and_b64 s[10:11], s[4:5], s[6:7]
	v_sub_f32_e32 v5, v5, v21
	v_mul_f32_e32 v6, v32, v5
	v_sub_f32_e32 v4, v24, v4
	v_cndmask_b32_e64 v6, 0, v6, s[10:11]
	v_mul_f32_e32 v7, v32, v4
	s_and_b64 s[10:11], s[4:5], s[8:9]
	v_cndmask_b32_e64 v6, v6, v7, s[10:11]
	v_mul_f32_e32 v5, v31, v5
	s_and_b64 s[6:7], s[2:3], s[6:7]
	;; [unrolled: 3-line block ×3, first 2 shown]
	v_cndmask_b32_e64 v6, v5, v4, s[6:7]
.LBB1_101:                              ;   in Loop: Header=BB1_3 Depth=1
	s_or_b64 exec, exec, s[48:49]
	v_ashrrev_i32_e32 v4, 31, v3
	v_lshlrev_b64 v[4:5], 2, v[3:4]
	v_mov_b32_e32 v7, s37
	v_add_co_u32_e64 v4, s[6:7], s36, v4
	v_addc_co_u32_e64 v5, s[6:7], v7, v5, s[6:7]
	global_load_dword v7, v[4:5], off offset:-8
	v_mul_f32_e32 v33, v20, v6
	s_mov_b64 s[8:9], 0
.LBB1_102:                              ;   Parent Loop BB1_3 Depth=1
                                        ; =>  This Inner Loop Header: Depth=2
	s_waitcnt vmcnt(0)
	v_add_f32_e32 v6, v7, v33
	global_atomic_cmpswap v6, v[4:5], v[6:7], off offset:-8 glc
	s_waitcnt vmcnt(0)
	v_cmp_eq_u32_e64 s[6:7], v6, v7
	s_or_b64 s[8:9], s[6:7], s[8:9]
	v_mov_b32_e32 v7, v6
	s_andn2_b64 exec, exec, s[8:9]
	s_cbranch_execnz .LBB1_102
.LBB1_103:                              ;   in Loop: Header=BB1_3 Depth=1
	s_or_b64 exec, exec, s[46:47]
	v_cmp_gt_i32_e64 s[6:7], 1, v1
	v_cmp_lt_i32_e64 s[8:9], s14, v1
	s_or_b64 s[6:7], s[6:7], s[8:9]
	s_nor_b64 s[6:7], s[6:7], s[44:45]
	s_and_saveexec_b64 s[46:47], s[6:7]
	s_cbranch_execz .LBB1_109
; %bb.104:                              ;   in Loop: Header=BB1_3 Depth=1
	v_add_u32_e32 v5, -1, v1
	v_cvt_f32_u32_e32 v4, v5
	v_sub_f32_e32 v6, v21, v4
	v_cmp_lt_f32_e64 s[6:7], |v6|, 1.0
	s_and_b64 exec, exec, s[6:7]
	s_cbranch_execz .LBB1_109
; %bb.105:                              ;   in Loop: Header=BB1_3 Depth=1
	s_or_b64 s[6:7], vcc, s[40:41]
	s_nor_b64 s[6:7], s[6:7], s[0:1]
	v_mov_b32_e32 v6, 0
	s_and_saveexec_b64 s[48:49], s[6:7]
	s_cbranch_execz .LBB1_107
; %bb.106:                              ;   in Loop: Header=BB1_3 Depth=1
	v_cvt_f32_u32_e32 v6, v1
	v_cmp_eq_u32_e64 s[6:7], v5, v22
	v_cmp_eq_u32_e64 s[8:9], v5, v23
	s_and_b64 s[10:11], s[4:5], s[6:7]
	v_sub_f32_e32 v5, v6, v21
	v_mul_f32_e32 v6, v32, v5
	v_sub_f32_e32 v4, v24, v4
	v_cndmask_b32_e64 v6, 0, v6, s[10:11]
	v_mul_f32_e32 v7, v32, v4
	s_and_b64 s[10:11], s[4:5], s[8:9]
	v_cndmask_b32_e64 v6, v6, v7, s[10:11]
	v_mul_f32_e32 v5, v31, v5
	s_and_b64 s[6:7], s[2:3], s[6:7]
	;; [unrolled: 3-line block ×3, first 2 shown]
	v_cndmask_b32_e64 v6, v5, v4, s[6:7]
.LBB1_107:                              ;   in Loop: Header=BB1_3 Depth=1
	s_or_b64 exec, exec, s[48:49]
	v_ashrrev_i32_e32 v4, 31, v3
	v_lshlrev_b64 v[4:5], 2, v[3:4]
	v_mov_b32_e32 v7, s37
	v_add_co_u32_e64 v4, s[6:7], s36, v4
	v_addc_co_u32_e64 v5, s[6:7], v7, v5, s[6:7]
	global_load_dword v7, v[4:5], off offset:-4
	v_mul_f32_e32 v33, v20, v6
	s_mov_b64 s[8:9], 0
.LBB1_108:                              ;   Parent Loop BB1_3 Depth=1
                                        ; =>  This Inner Loop Header: Depth=2
	s_waitcnt vmcnt(0)
	v_add_f32_e32 v6, v7, v33
	global_atomic_cmpswap v6, v[4:5], v[6:7], off offset:-4 glc
	s_waitcnt vmcnt(0)
	v_cmp_eq_u32_e64 s[6:7], v6, v7
	s_or_b64 s[8:9], s[6:7], s[8:9]
	v_mov_b32_e32 v7, v6
	s_andn2_b64 exec, exec, s[8:9]
	s_cbranch_execnz .LBB1_108
.LBB1_109:                              ;   in Loop: Header=BB1_3 Depth=1
	s_or_b64 exec, exec, s[46:47]
	v_cmp_gt_i32_e64 s[6:7], 0, v1
	v_cmp_le_i32_e64 s[8:9], s14, v1
	s_or_b64 s[6:7], s[6:7], s[8:9]
	s_nor_b64 s[6:7], s[6:7], s[44:45]
	s_and_saveexec_b64 s[46:47], s[6:7]
	s_cbranch_execz .LBB1_115
; %bb.110:                              ;   in Loop: Header=BB1_3 Depth=1
	v_cvt_f32_u32_e32 v4, v1
	v_sub_f32_e32 v5, v21, v4
	v_cmp_lt_f32_e64 s[6:7], |v5|, 1.0
	s_and_b64 exec, exec, s[6:7]
	s_cbranch_execz .LBB1_115
; %bb.111:                              ;   in Loop: Header=BB1_3 Depth=1
	s_or_b64 s[6:7], vcc, s[40:41]
	s_nor_b64 s[6:7], s[6:7], s[0:1]
	v_mov_b32_e32 v6, 0
	s_and_saveexec_b64 s[48:49], s[6:7]
	s_cbranch_execz .LBB1_113
; %bb.112:                              ;   in Loop: Header=BB1_3 Depth=1
	v_add_u32_e32 v5, 1, v1
	v_cvt_f32_u32_e32 v5, v5
	v_cmp_eq_u32_e64 s[6:7], v1, v22
	v_cmp_eq_u32_e64 s[8:9], v23, v1
	s_and_b64 s[10:11], s[4:5], s[6:7]
	v_sub_f32_e32 v5, v5, v21
	v_mul_f32_e32 v6, v32, v5
	v_sub_f32_e32 v4, v24, v4
	v_cndmask_b32_e64 v6, 0, v6, s[10:11]
	v_mul_f32_e32 v7, v32, v4
	s_and_b64 s[10:11], s[4:5], s[8:9]
	v_cndmask_b32_e64 v6, v6, v7, s[10:11]
	v_mul_f32_e32 v5, v31, v5
	s_and_b64 s[6:7], s[2:3], s[6:7]
	v_cndmask_b32_e64 v5, v6, v5, s[6:7]
	v_mul_f32_e32 v4, v31, v4
	s_and_b64 s[6:7], s[2:3], s[8:9]
	v_cndmask_b32_e64 v6, v5, v4, s[6:7]
.LBB1_113:                              ;   in Loop: Header=BB1_3 Depth=1
	s_or_b64 exec, exec, s[48:49]
	v_ashrrev_i32_e32 v4, 31, v3
	v_lshlrev_b64 v[4:5], 2, v[3:4]
	v_mov_b32_e32 v7, s37
	v_add_co_u32_e64 v4, s[6:7], s36, v4
	v_addc_co_u32_e64 v5, s[6:7], v7, v5, s[6:7]
	global_load_dword v7, v[4:5], off
	v_mul_f32_e32 v33, v20, v6
	s_mov_b64 s[8:9], 0
.LBB1_114:                              ;   Parent Loop BB1_3 Depth=1
                                        ; =>  This Inner Loop Header: Depth=2
	s_waitcnt vmcnt(0)
	v_add_f32_e32 v6, v7, v33
	global_atomic_cmpswap v6, v[4:5], v[6:7], off glc
	s_waitcnt vmcnt(0)
	v_cmp_eq_u32_e64 s[6:7], v6, v7
	s_or_b64 s[8:9], s[6:7], s[8:9]
	v_mov_b32_e32 v7, v6
	s_andn2_b64 exec, exec, s[8:9]
	s_cbranch_execnz .LBB1_114
.LBB1_115:                              ;   in Loop: Header=BB1_3 Depth=1
	s_or_b64 exec, exec, s[46:47]
	v_add_u32_e32 v4, 1, v1
	v_cmp_gt_i32_e64 s[6:7], -1, v1
	v_cmp_le_i32_e64 s[8:9], s14, v4
	s_or_b64 s[6:7], s[6:7], s[8:9]
	s_nor_b64 s[6:7], s[6:7], s[44:45]
	s_and_saveexec_b64 s[46:47], s[6:7]
	s_cbranch_execz .LBB1_121
; %bb.116:                              ;   in Loop: Header=BB1_3 Depth=1
	v_cvt_f32_u32_e32 v5, v4
	v_sub_f32_e32 v6, v21, v5
	v_cmp_lt_f32_e64 s[6:7], |v6|, 1.0
	s_and_b64 exec, exec, s[6:7]
	s_cbranch_execz .LBB1_121
; %bb.117:                              ;   in Loop: Header=BB1_3 Depth=1
	s_or_b64 s[6:7], vcc, s[40:41]
	s_nor_b64 s[6:7], s[6:7], s[0:1]
	v_mov_b32_e32 v6, 0
	s_and_saveexec_b64 s[48:49], s[6:7]
	s_cbranch_execz .LBB1_119
; %bb.118:                              ;   in Loop: Header=BB1_3 Depth=1
	v_add_u32_e32 v6, 2, v1
	v_cvt_f32_u32_e32 v6, v6
	v_cmp_eq_u32_e64 s[6:7], v4, v22
	v_cmp_eq_u32_e64 s[8:9], v1, v22
	s_and_b64 s[10:11], s[4:5], s[6:7]
	v_sub_f32_e32 v4, v6, v21
	v_mul_f32_e32 v6, v32, v4
	v_sub_f32_e32 v5, v24, v5
	v_cndmask_b32_e64 v6, 0, v6, s[10:11]
	v_mul_f32_e32 v7, v32, v5
	s_and_b64 s[10:11], s[4:5], s[8:9]
	v_cndmask_b32_e64 v6, v6, v7, s[10:11]
	v_mul_f32_e32 v4, v31, v4
	s_and_b64 s[6:7], s[2:3], s[6:7]
	;; [unrolled: 3-line block ×3, first 2 shown]
	v_cndmask_b32_e64 v6, v4, v5, s[6:7]
.LBB1_119:                              ;   in Loop: Header=BB1_3 Depth=1
	s_or_b64 exec, exec, s[48:49]
	v_ashrrev_i32_e32 v4, 31, v3
	v_lshlrev_b64 v[4:5], 2, v[3:4]
	v_mov_b32_e32 v7, s37
	v_add_co_u32_e64 v4, s[6:7], s36, v4
	v_addc_co_u32_e64 v5, s[6:7], v7, v5, s[6:7]
	global_load_dword v7, v[4:5], off offset:4
	v_mul_f32_e32 v33, v20, v6
	s_mov_b64 s[8:9], 0
.LBB1_120:                              ;   Parent Loop BB1_3 Depth=1
                                        ; =>  This Inner Loop Header: Depth=2
	s_waitcnt vmcnt(0)
	v_add_f32_e32 v6, v7, v33
	global_atomic_cmpswap v6, v[4:5], v[6:7], off offset:4 glc
	s_waitcnt vmcnt(0)
	v_cmp_eq_u32_e64 s[6:7], v6, v7
	s_or_b64 s[8:9], s[6:7], s[8:9]
	v_mov_b32_e32 v7, v6
	s_andn2_b64 exec, exec, s[8:9]
	s_cbranch_execnz .LBB1_120
.LBB1_121:                              ;   in Loop: Header=BB1_3 Depth=1
	s_or_b64 exec, exec, s[46:47]
	v_add_u32_e32 v4, 2, v1
	v_cmp_gt_i32_e64 s[6:7], -2, v1
	v_cmp_le_i32_e64 s[8:9], s14, v4
	s_or_b64 s[6:7], s[6:7], s[8:9]
	s_nor_b64 s[6:7], s[6:7], s[44:45]
	s_and_b64 exec, exec, s[6:7]
	s_cbranch_execz .LBB1_127
; %bb.122:                              ;   in Loop: Header=BB1_3 Depth=1
	v_cvt_f32_u32_e32 v5, v4
	v_sub_f32_e32 v6, v21, v5
	v_cmp_lt_f32_e64 s[6:7], |v6|, 1.0
	s_and_b64 exec, exec, s[6:7]
	s_cbranch_execz .LBB1_127
; %bb.123:                              ;   in Loop: Header=BB1_3 Depth=1
	s_or_b64 s[6:7], vcc, s[40:41]
	s_nor_b64 s[6:7], s[6:7], s[0:1]
	v_mov_b32_e32 v6, 0
	s_and_saveexec_b64 s[44:45], s[6:7]
	s_cbranch_execz .LBB1_125
; %bb.124:                              ;   in Loop: Header=BB1_3 Depth=1
	v_add_u32_e32 v6, 3, v1
	v_cvt_f32_u32_e32 v6, v6
	v_cmp_eq_u32_e64 s[6:7], v4, v22
	v_cmp_eq_u32_e64 s[8:9], v4, v23
	s_and_b64 s[10:11], s[4:5], s[6:7]
	v_sub_f32_e32 v4, v6, v21
	v_mul_f32_e32 v6, v32, v4
	v_sub_f32_e32 v5, v24, v5
	v_cndmask_b32_e64 v6, 0, v6, s[10:11]
	v_mul_f32_e32 v7, v32, v5
	s_and_b64 s[4:5], s[4:5], s[8:9]
	v_cndmask_b32_e64 v6, v6, v7, s[4:5]
	v_mul_f32_e32 v4, v31, v4
	s_and_b64 s[4:5], s[2:3], s[6:7]
	;; [unrolled: 3-line block ×3, first 2 shown]
	v_cndmask_b32_e64 v6, v4, v5, s[2:3]
.LBB1_125:                              ;   in Loop: Header=BB1_3 Depth=1
	s_or_b64 exec, exec, s[44:45]
	v_ashrrev_i32_e32 v4, 31, v3
	v_lshlrev_b64 v[4:5], 2, v[3:4]
	v_mov_b32_e32 v7, s37
	v_add_co_u32_e64 v4, s[2:3], s36, v4
	v_addc_co_u32_e64 v5, s[2:3], v7, v5, s[2:3]
	global_load_dword v7, v[4:5], off offset:8
	v_mul_f32_e32 v31, v20, v6
	s_mov_b64 s[4:5], 0
.LBB1_126:                              ;   Parent Loop BB1_3 Depth=1
                                        ; =>  This Inner Loop Header: Depth=2
	s_waitcnt vmcnt(0)
	v_add_f32_e32 v6, v7, v31
	global_atomic_cmpswap v6, v[4:5], v[6:7], off offset:8 glc
	s_waitcnt vmcnt(0)
	v_cmp_eq_u32_e64 s[2:3], v6, v7
	s_or_b64 s[4:5], s[2:3], s[4:5]
	v_mov_b32_e32 v7, v6
	s_andn2_b64 exec, exec, s[4:5]
	s_cbranch_execnz .LBB1_126
.LBB1_127:                              ;   in Loop: Header=BB1_3 Depth=1
	s_or_b64 exec, exec, s[42:43]
	v_cmp_lt_i32_e64 s[2:3], -3, v2
	v_cmp_gt_i32_e64 s[4:5], s13, v8
	s_and_b64 s[2:3], s[2:3], s[4:5]
	s_and_saveexec_b64 s[42:43], s[2:3]
	s_cbranch_execz .LBB1_2
; %bb.128:                              ;   in Loop: Header=BB1_3 Depth=1
	v_add_u32_e32 v2, 3, v2
	v_cvt_f32_u32_e32 v5, v2
	v_sub_f32_e32 v4, v25, v30
	v_cmp_gt_i32_e64 s[6:7], 2, v1
	v_cmp_le_i32_e64 s[8:9], s14, v26
	v_cmp_nlt_f32_e64 s[44:45], |v4|, 1.0
	s_or_b64 s[6:7], s[6:7], s[8:9]
	v_add_u32_e32 v2, s14, v3
	v_cmp_eq_u32_e64 s[4:5], v8, v27
	v_sub_f32_e32 v25, v5, v25
	v_cmp_eq_u32_e64 s[2:3], v8, v28
	v_sub_f32_e32 v7, v29, v30
	s_nor_b64 s[6:7], s[6:7], s[44:45]
	s_and_saveexec_b64 s[46:47], s[6:7]
	s_cbranch_execz .LBB1_134
; %bb.129:                              ;   in Loop: Header=BB1_3 Depth=1
	v_cvt_f32_u32_e32 v3, v26
	v_sub_f32_e32 v4, v21, v3
	v_cmp_lt_f32_e64 s[6:7], |v4|, 1.0
	s_and_b64 exec, exec, s[6:7]
	s_cbranch_execz .LBB1_134
; %bb.130:                              ;   in Loop: Header=BB1_3 Depth=1
	s_or_b64 s[6:7], vcc, s[40:41]
	s_nor_b64 s[6:7], s[6:7], s[0:1]
	v_mov_b32_e32 v5, 0
	s_and_saveexec_b64 s[48:49], s[6:7]
	s_cbranch_execz .LBB1_132
; %bb.131:                              ;   in Loop: Header=BB1_3 Depth=1
	v_add_u32_e32 v4, -1, v1
	v_cvt_f32_u32_e32 v4, v4
	v_cmp_eq_u32_e64 s[6:7], v26, v22
	v_cmp_eq_u32_e64 s[8:9], v26, v23
	s_and_b64 s[10:11], s[4:5], s[6:7]
	v_sub_f32_e32 v4, v4, v21
	v_mul_f32_e32 v5, v25, v4
	v_sub_f32_e32 v3, v24, v3
	v_cndmask_b32_e64 v5, 0, v5, s[10:11]
	v_mul_f32_e32 v6, v25, v3
	s_and_b64 s[10:11], s[4:5], s[8:9]
	v_cndmask_b32_e64 v5, v5, v6, s[10:11]
	v_mul_f32_e32 v4, v7, v4
	s_and_b64 s[6:7], s[2:3], s[6:7]
	;; [unrolled: 3-line block ×3, first 2 shown]
	v_cndmask_b32_e64 v5, v4, v3, s[6:7]
.LBB1_132:                              ;   in Loop: Header=BB1_3 Depth=1
	s_or_b64 exec, exec, s[48:49]
	v_ashrrev_i32_e32 v3, 31, v2
	v_lshlrev_b64 v[3:4], 2, v[2:3]
	v_mov_b32_e32 v6, s37
	v_add_co_u32_e64 v3, s[6:7], s36, v3
	v_addc_co_u32_e64 v4, s[6:7], v6, v4, s[6:7]
	global_load_dword v6, v[3:4], off offset:-8
	v_mul_f32_e32 v8, v20, v5
	s_mov_b64 s[8:9], 0
.LBB1_133:                              ;   Parent Loop BB1_3 Depth=1
                                        ; =>  This Inner Loop Header: Depth=2
	s_waitcnt vmcnt(0)
	v_add_f32_e32 v5, v6, v8
	global_atomic_cmpswap v5, v[3:4], v[5:6], off offset:-8 glc
	s_waitcnt vmcnt(0)
	v_cmp_eq_u32_e64 s[6:7], v5, v6
	s_or_b64 s[8:9], s[6:7], s[8:9]
	v_mov_b32_e32 v6, v5
	s_andn2_b64 exec, exec, s[8:9]
	s_cbranch_execnz .LBB1_133
.LBB1_134:                              ;   in Loop: Header=BB1_3 Depth=1
	s_or_b64 exec, exec, s[46:47]
	v_cmp_gt_i32_e64 s[6:7], 1, v1
	v_cmp_lt_i32_e64 s[8:9], s14, v1
	s_or_b64 s[6:7], s[6:7], s[8:9]
	s_nor_b64 s[6:7], s[6:7], s[44:45]
	s_and_saveexec_b64 s[46:47], s[6:7]
	s_cbranch_execz .LBB1_140
; %bb.135:                              ;   in Loop: Header=BB1_3 Depth=1
	v_add_u32_e32 v4, -1, v1
	v_cvt_f32_u32_e32 v3, v4
	v_sub_f32_e32 v5, v21, v3
	v_cmp_lt_f32_e64 s[6:7], |v5|, 1.0
	s_and_b64 exec, exec, s[6:7]
	s_cbranch_execz .LBB1_140
; %bb.136:                              ;   in Loop: Header=BB1_3 Depth=1
	s_or_b64 s[6:7], vcc, s[40:41]
	s_nor_b64 s[6:7], s[6:7], s[0:1]
	v_mov_b32_e32 v5, 0
	s_and_saveexec_b64 s[48:49], s[6:7]
	s_cbranch_execz .LBB1_138
; %bb.137:                              ;   in Loop: Header=BB1_3 Depth=1
	v_cvt_f32_u32_e32 v5, v1
	v_cmp_eq_u32_e64 s[6:7], v4, v22
	v_cmp_eq_u32_e64 s[8:9], v4, v23
	s_and_b64 s[10:11], s[4:5], s[6:7]
	v_sub_f32_e32 v4, v5, v21
	v_mul_f32_e32 v5, v25, v4
	v_sub_f32_e32 v3, v24, v3
	v_cndmask_b32_e64 v5, 0, v5, s[10:11]
	v_mul_f32_e32 v6, v25, v3
	s_and_b64 s[10:11], s[4:5], s[8:9]
	v_cndmask_b32_e64 v5, v5, v6, s[10:11]
	v_mul_f32_e32 v4, v7, v4
	s_and_b64 s[6:7], s[2:3], s[6:7]
	;; [unrolled: 3-line block ×3, first 2 shown]
	v_cndmask_b32_e64 v5, v4, v3, s[6:7]
.LBB1_138:                              ;   in Loop: Header=BB1_3 Depth=1
	s_or_b64 exec, exec, s[48:49]
	v_ashrrev_i32_e32 v3, 31, v2
	v_lshlrev_b64 v[3:4], 2, v[2:3]
	v_mov_b32_e32 v6, s37
	v_add_co_u32_e64 v3, s[6:7], s36, v3
	v_addc_co_u32_e64 v4, s[6:7], v6, v4, s[6:7]
	global_load_dword v6, v[3:4], off offset:-4
	v_mul_f32_e32 v8, v20, v5
	s_mov_b64 s[8:9], 0
.LBB1_139:                              ;   Parent Loop BB1_3 Depth=1
                                        ; =>  This Inner Loop Header: Depth=2
	s_waitcnt vmcnt(0)
	v_add_f32_e32 v5, v6, v8
	global_atomic_cmpswap v5, v[3:4], v[5:6], off offset:-4 glc
	s_waitcnt vmcnt(0)
	v_cmp_eq_u32_e64 s[6:7], v5, v6
	s_or_b64 s[8:9], s[6:7], s[8:9]
	v_mov_b32_e32 v6, v5
	s_andn2_b64 exec, exec, s[8:9]
	s_cbranch_execnz .LBB1_139
.LBB1_140:                              ;   in Loop: Header=BB1_3 Depth=1
	s_or_b64 exec, exec, s[46:47]
	v_cmp_gt_i32_e64 s[6:7], 0, v1
	v_cmp_le_i32_e64 s[8:9], s14, v1
	s_or_b64 s[6:7], s[6:7], s[8:9]
	s_nor_b64 s[6:7], s[6:7], s[44:45]
	s_and_saveexec_b64 s[46:47], s[6:7]
	s_cbranch_execz .LBB1_146
; %bb.141:                              ;   in Loop: Header=BB1_3 Depth=1
	v_cvt_f32_u32_e32 v3, v1
	v_sub_f32_e32 v4, v21, v3
	v_cmp_lt_f32_e64 s[6:7], |v4|, 1.0
	s_and_b64 exec, exec, s[6:7]
	s_cbranch_execz .LBB1_146
; %bb.142:                              ;   in Loop: Header=BB1_3 Depth=1
	s_or_b64 s[6:7], vcc, s[40:41]
	s_nor_b64 s[6:7], s[6:7], s[0:1]
	v_mov_b32_e32 v5, 0
	s_and_saveexec_b64 s[48:49], s[6:7]
	s_cbranch_execz .LBB1_144
; %bb.143:                              ;   in Loop: Header=BB1_3 Depth=1
	v_add_u32_e32 v4, 1, v1
	v_cvt_f32_u32_e32 v4, v4
	v_cmp_eq_u32_e64 s[6:7], v1, v22
	v_cmp_eq_u32_e64 s[8:9], v23, v1
	s_and_b64 s[10:11], s[4:5], s[6:7]
	v_sub_f32_e32 v4, v4, v21
	v_mul_f32_e32 v5, v25, v4
	v_sub_f32_e32 v3, v24, v3
	v_cndmask_b32_e64 v5, 0, v5, s[10:11]
	v_mul_f32_e32 v6, v25, v3
	s_and_b64 s[10:11], s[4:5], s[8:9]
	v_cndmask_b32_e64 v5, v5, v6, s[10:11]
	v_mul_f32_e32 v4, v7, v4
	s_and_b64 s[6:7], s[2:3], s[6:7]
	;; [unrolled: 3-line block ×3, first 2 shown]
	v_cndmask_b32_e64 v5, v4, v3, s[6:7]
.LBB1_144:                              ;   in Loop: Header=BB1_3 Depth=1
	s_or_b64 exec, exec, s[48:49]
	v_ashrrev_i32_e32 v3, 31, v2
	v_lshlrev_b64 v[3:4], 2, v[2:3]
	v_mov_b32_e32 v6, s37
	v_add_co_u32_e64 v3, s[6:7], s36, v3
	v_addc_co_u32_e64 v4, s[6:7], v6, v4, s[6:7]
	global_load_dword v6, v[3:4], off
	v_mul_f32_e32 v8, v20, v5
	s_mov_b64 s[8:9], 0
.LBB1_145:                              ;   Parent Loop BB1_3 Depth=1
                                        ; =>  This Inner Loop Header: Depth=2
	s_waitcnt vmcnt(0)
	v_add_f32_e32 v5, v6, v8
	global_atomic_cmpswap v5, v[3:4], v[5:6], off glc
	s_waitcnt vmcnt(0)
	v_cmp_eq_u32_e64 s[6:7], v5, v6
	s_or_b64 s[8:9], s[6:7], s[8:9]
	v_mov_b32_e32 v6, v5
	s_andn2_b64 exec, exec, s[8:9]
	s_cbranch_execnz .LBB1_145
.LBB1_146:                              ;   in Loop: Header=BB1_3 Depth=1
	s_or_b64 exec, exec, s[46:47]
	v_add_u32_e32 v3, 1, v1
	v_cmp_gt_i32_e64 s[6:7], -1, v1
	v_cmp_le_i32_e64 s[8:9], s14, v3
	s_or_b64 s[6:7], s[6:7], s[8:9]
	s_nor_b64 s[6:7], s[6:7], s[44:45]
	s_and_saveexec_b64 s[46:47], s[6:7]
	s_cbranch_execz .LBB1_152
; %bb.147:                              ;   in Loop: Header=BB1_3 Depth=1
	v_cvt_f32_u32_e32 v4, v3
	v_sub_f32_e32 v5, v21, v4
	v_cmp_lt_f32_e64 s[6:7], |v5|, 1.0
	s_and_b64 exec, exec, s[6:7]
	s_cbranch_execz .LBB1_152
; %bb.148:                              ;   in Loop: Header=BB1_3 Depth=1
	s_or_b64 s[6:7], vcc, s[40:41]
	s_nor_b64 s[6:7], s[6:7], s[0:1]
	v_mov_b32_e32 v5, 0
	s_and_saveexec_b64 s[48:49], s[6:7]
	s_cbranch_execz .LBB1_150
; %bb.149:                              ;   in Loop: Header=BB1_3 Depth=1
	v_add_u32_e32 v5, 2, v1
	v_cvt_f32_u32_e32 v5, v5
	v_cmp_eq_u32_e64 s[6:7], v3, v22
	v_cmp_eq_u32_e64 s[8:9], v1, v22
	s_and_b64 s[10:11], s[4:5], s[6:7]
	v_sub_f32_e32 v3, v5, v21
	v_mul_f32_e32 v5, v25, v3
	v_sub_f32_e32 v4, v24, v4
	v_cndmask_b32_e64 v5, 0, v5, s[10:11]
	v_mul_f32_e32 v6, v25, v4
	s_and_b64 s[10:11], s[4:5], s[8:9]
	v_cndmask_b32_e64 v5, v5, v6, s[10:11]
	v_mul_f32_e32 v3, v7, v3
	s_and_b64 s[6:7], s[2:3], s[6:7]
	;; [unrolled: 3-line block ×3, first 2 shown]
	v_cndmask_b32_e64 v5, v3, v4, s[6:7]
.LBB1_150:                              ;   in Loop: Header=BB1_3 Depth=1
	s_or_b64 exec, exec, s[48:49]
	v_ashrrev_i32_e32 v3, 31, v2
	v_lshlrev_b64 v[3:4], 2, v[2:3]
	v_mov_b32_e32 v6, s37
	v_add_co_u32_e64 v3, s[6:7], s36, v3
	v_addc_co_u32_e64 v4, s[6:7], v6, v4, s[6:7]
	global_load_dword v6, v[3:4], off offset:4
	v_mul_f32_e32 v8, v20, v5
	s_mov_b64 s[8:9], 0
.LBB1_151:                              ;   Parent Loop BB1_3 Depth=1
                                        ; =>  This Inner Loop Header: Depth=2
	s_waitcnt vmcnt(0)
	v_add_f32_e32 v5, v6, v8
	global_atomic_cmpswap v5, v[3:4], v[5:6], off offset:4 glc
	s_waitcnt vmcnt(0)
	v_cmp_eq_u32_e64 s[6:7], v5, v6
	s_or_b64 s[8:9], s[6:7], s[8:9]
	v_mov_b32_e32 v6, v5
	s_andn2_b64 exec, exec, s[8:9]
	s_cbranch_execnz .LBB1_151
.LBB1_152:                              ;   in Loop: Header=BB1_3 Depth=1
	s_or_b64 exec, exec, s[46:47]
	v_add_u32_e32 v3, 2, v1
	v_cmp_gt_i32_e64 s[6:7], -2, v1
	v_cmp_le_i32_e64 s[8:9], s14, v3
	s_or_b64 s[6:7], s[6:7], s[8:9]
	s_nor_b64 s[6:7], s[6:7], s[44:45]
	s_and_b64 exec, exec, s[6:7]
	s_cbranch_execz .LBB1_2
; %bb.153:                              ;   in Loop: Header=BB1_3 Depth=1
	v_cvt_f32_u32_e32 v4, v3
	v_sub_f32_e32 v5, v21, v4
	v_cmp_lt_f32_e64 s[6:7], |v5|, 1.0
	s_and_b64 exec, exec, s[6:7]
	s_cbranch_execz .LBB1_2
; %bb.154:                              ;   in Loop: Header=BB1_3 Depth=1
	s_or_b64 s[6:7], vcc, s[40:41]
	s_nor_b64 s[0:1], s[6:7], s[0:1]
	v_mov_b32_e32 v5, 0
	s_and_saveexec_b64 s[8:9], s[0:1]
	s_cbranch_execz .LBB1_156
; %bb.155:                              ;   in Loop: Header=BB1_3 Depth=1
	v_add_u32_e32 v1, 3, v1
	v_cvt_f32_u32_e32 v1, v1
	v_cmp_eq_u32_e32 vcc, v3, v22
	v_cmp_eq_u32_e64 s[0:1], v3, v23
	s_and_b64 s[6:7], s[4:5], vcc
	v_sub_f32_e32 v1, v1, v21
	v_mul_f32_e32 v3, v25, v1
	v_sub_f32_e32 v4, v24, v4
	v_cndmask_b32_e64 v3, 0, v3, s[6:7]
	v_mul_f32_e32 v5, v25, v4
	s_and_b64 s[4:5], s[4:5], s[0:1]
	v_cndmask_b32_e64 v3, v3, v5, s[4:5]
	v_mul_f32_e32 v1, v7, v1
	s_and_b64 vcc, s[2:3], vcc
	v_cndmask_b32_e32 v1, v3, v1, vcc
	v_mul_f32_e32 v3, v7, v4
	s_and_b64 vcc, s[2:3], s[0:1]
	v_cndmask_b32_e32 v5, v1, v3, vcc
.LBB1_156:                              ;   in Loop: Header=BB1_3 Depth=1
	s_or_b64 exec, exec, s[8:9]
	v_ashrrev_i32_e32 v3, 31, v2
	v_lshlrev_b64 v[1:2], 2, v[2:3]
	v_mov_b32_e32 v3, s37
	v_add_co_u32_e32 v1, vcc, s36, v1
	v_addc_co_u32_e32 v2, vcc, v3, v2, vcc
	global_load_dword v4, v[1:2], off offset:8
	v_mul_f32_e32 v5, v20, v5
	s_mov_b64 s[0:1], 0
.LBB1_157:                              ;   Parent Loop BB1_3 Depth=1
                                        ; =>  This Inner Loop Header: Depth=2
	s_waitcnt vmcnt(0)
	v_add_f32_e32 v3, v4, v5
	global_atomic_cmpswap v3, v[1:2], v[3:4], off offset:8 glc
	s_waitcnt vmcnt(0)
	v_cmp_eq_u32_e32 vcc, v3, v4
	s_or_b64 s[0:1], vcc, s[0:1]
	v_mov_b32_e32 v4, v3
	s_andn2_b64 exec, exec, s[0:1]
	s_cbranch_execnz .LBB1_157
	s_branch .LBB1_2
.LBB1_158:
	s_endpgm
	.section	.rodata,"a",@progbits
	.p2align	6, 0x0
	.amdhsa_kernel _Z38modulated_deformable_col2im_gpu_kerneliPKfS0_S0_iiiiiiiiiiiiiiiiPf
		.amdhsa_group_segment_fixed_size 0
		.amdhsa_private_segment_fixed_size 0
		.amdhsa_kernarg_size 360
		.amdhsa_user_sgpr_count 6
		.amdhsa_user_sgpr_private_segment_buffer 1
		.amdhsa_user_sgpr_dispatch_ptr 0
		.amdhsa_user_sgpr_queue_ptr 0
		.amdhsa_user_sgpr_kernarg_segment_ptr 1
		.amdhsa_user_sgpr_dispatch_id 0
		.amdhsa_user_sgpr_flat_scratch_init 0
		.amdhsa_user_sgpr_private_segment_size 0
		.amdhsa_uses_dynamic_stack 0
		.amdhsa_system_sgpr_private_segment_wavefront_offset 0
		.amdhsa_system_sgpr_workgroup_id_x 1
		.amdhsa_system_sgpr_workgroup_id_y 0
		.amdhsa_system_sgpr_workgroup_id_z 0
		.amdhsa_system_sgpr_workgroup_info 0
		.amdhsa_system_vgpr_workitem_id 0
		.amdhsa_next_free_vgpr 35
		.amdhsa_next_free_sgpr 64
		.amdhsa_reserve_vcc 1
		.amdhsa_reserve_flat_scratch 0
		.amdhsa_float_round_mode_32 0
		.amdhsa_float_round_mode_16_64 0
		.amdhsa_float_denorm_mode_32 3
		.amdhsa_float_denorm_mode_16_64 3
		.amdhsa_dx10_clamp 1
		.amdhsa_ieee_mode 1
		.amdhsa_fp16_overflow 0
		.amdhsa_exception_fp_ieee_invalid_op 0
		.amdhsa_exception_fp_denorm_src 0
		.amdhsa_exception_fp_ieee_div_zero 0
		.amdhsa_exception_fp_ieee_overflow 0
		.amdhsa_exception_fp_ieee_underflow 0
		.amdhsa_exception_fp_ieee_inexact 0
		.amdhsa_exception_int_div_zero 0
	.end_amdhsa_kernel
	.text
.Lfunc_end1:
	.size	_Z38modulated_deformable_col2im_gpu_kerneliPKfS0_S0_iiiiiiiiiiiiiiiiPf, .Lfunc_end1-_Z38modulated_deformable_col2im_gpu_kerneliPKfS0_S0_iiiiiiiiiiiiiiiiPf
                                        ; -- End function
	.set _Z38modulated_deformable_col2im_gpu_kerneliPKfS0_S0_iiiiiiiiiiiiiiiiPf.num_vgpr, 35
	.set _Z38modulated_deformable_col2im_gpu_kerneliPKfS0_S0_iiiiiiiiiiiiiiiiPf.num_agpr, 0
	.set _Z38modulated_deformable_col2im_gpu_kerneliPKfS0_S0_iiiiiiiiiiiiiiiiPf.numbered_sgpr, 64
	.set _Z38modulated_deformable_col2im_gpu_kerneliPKfS0_S0_iiiiiiiiiiiiiiiiPf.num_named_barrier, 0
	.set _Z38modulated_deformable_col2im_gpu_kerneliPKfS0_S0_iiiiiiiiiiiiiiiiPf.private_seg_size, 0
	.set _Z38modulated_deformable_col2im_gpu_kerneliPKfS0_S0_iiiiiiiiiiiiiiiiPf.uses_vcc, 1
	.set _Z38modulated_deformable_col2im_gpu_kerneliPKfS0_S0_iiiiiiiiiiiiiiiiPf.uses_flat_scratch, 0
	.set _Z38modulated_deformable_col2im_gpu_kerneliPKfS0_S0_iiiiiiiiiiiiiiiiPf.has_dyn_sized_stack, 0
	.set _Z38modulated_deformable_col2im_gpu_kerneliPKfS0_S0_iiiiiiiiiiiiiiiiPf.has_recursion, 0
	.set _Z38modulated_deformable_col2im_gpu_kerneliPKfS0_S0_iiiiiiiiiiiiiiiiPf.has_indirect_call, 0
	.section	.AMDGPU.csdata,"",@progbits
; Kernel info:
; codeLenInByte = 8604
; TotalNumSgprs: 68
; NumVgprs: 35
; ScratchSize: 0
; MemoryBound: 0
; FloatMode: 240
; IeeeMode: 1
; LDSByteSize: 0 bytes/workgroup (compile time only)
; SGPRBlocks: 8
; VGPRBlocks: 8
; NumSGPRsForWavesPerEU: 68
; NumVGPRsForWavesPerEU: 35
; Occupancy: 7
; WaveLimiterHint : 1
; COMPUTE_PGM_RSRC2:SCRATCH_EN: 0
; COMPUTE_PGM_RSRC2:USER_SGPR: 6
; COMPUTE_PGM_RSRC2:TRAP_HANDLER: 0
; COMPUTE_PGM_RSRC2:TGID_X_EN: 1
; COMPUTE_PGM_RSRC2:TGID_Y_EN: 0
; COMPUTE_PGM_RSRC2:TGID_Z_EN: 0
; COMPUTE_PGM_RSRC2:TIDIG_COMP_CNT: 0
	.text
	.protected	_Z44modulated_deformable_col2im_coord_gpu_kerneliPKfS0_S0_S0_iiiiiiiiiiiiiiiiiPfS1_ ; -- Begin function _Z44modulated_deformable_col2im_coord_gpu_kerneliPKfS0_S0_S0_iiiiiiiiiiiiiiiiiPfS1_
	.globl	_Z44modulated_deformable_col2im_coord_gpu_kerneliPKfS0_S0_S0_iiiiiiiiiiiiiiiiiPfS1_
	.p2align	8
	.type	_Z44modulated_deformable_col2im_coord_gpu_kerneliPKfS0_S0_S0_iiiiiiiiiiiiiiiiiPfS1_,@function
_Z44modulated_deformable_col2im_coord_gpu_kerneliPKfS0_S0_S0_iiiiiiiiiiiiiiiiiPfS1_: ; @_Z44modulated_deformable_col2im_coord_gpu_kerneliPKfS0_S0_S0_iiiiiiiiiiiiiiiiiPfS1_
; %bb.0:
	s_load_dword s2, s[4:5], 0x8c
	s_load_dword s33, s[4:5], 0x0
	s_add_u32 s0, s4, 0x80
	s_addc_u32 s1, s5, 0
	s_waitcnt lgkmcnt(0)
	s_and_b32 s2, s2, 0xffff
	s_mul_i32 s6, s6, s2
	v_add_u32_e32 v0, s6, v0
	v_cmp_gt_i32_e32 vcc, s33, v0
	s_and_saveexec_b64 s[6:7], vcc
	s_cbranch_execz .LBB2_47
; %bb.1:
	s_load_dwordx16 s[8:23], s[4:5], 0x2c
	s_load_dwordx8 s[24:31], s[4:5], 0x8
	s_load_dwordx4 s[36:39], s[4:5], 0x70
	s_load_dword s63, s[0:1], 0x0
	s_waitcnt lgkmcnt(0)
	s_abs_i32 s60, s23
	v_cvt_f32_u32_e32 v1, s60
	s_abs_i32 s62, s22
	v_cvt_f32_u32_e32 v2, s62
	s_sub_i32 s0, 0, s60
	v_rcp_iflag_f32_e32 v1, v1
	s_abs_i32 s65, s20
	v_rcp_iflag_f32_e32 v2, v2
	v_cvt_f32_u32_e32 v5, s65
	v_mul_f32_e32 v1, 0x4f7ffffe, v1
	v_cvt_u32_f32_e32 v1, v1
	v_mul_f32_e32 v2, 0x4f7ffffe, v2
	v_cvt_u32_f32_e32 v2, v2
	s_lshl_b32 s54, s11, 1
	v_mul_lo_u32 v3, s0, v1
	s_sub_i32 s0, 0, s62
	v_mul_lo_u32 v4, s0, v2
	s_mul_i32 s4, s54, s22
	v_mul_hi_u32 v3, v1, v3
	s_mul_i32 s54, s54, s10
	s_abs_i32 s67, s54
	s_sub_i32 s0, 0, s65
	v_add_u32_e32 v8, v1, v3
	v_mul_hi_u32 v1, v2, v4
	v_rcp_iflag_f32_e32 v3, v5
	v_cvt_f32_u32_e32 v4, s67
	s_abs_i32 s69, s10
	v_add_u32_e32 v9, v2, v1
	v_mul_f32_e32 v1, 0x4f7ffffe, v3
	v_cvt_u32_f32_e32 v1, v1
	v_rcp_iflag_f32_e32 v2, v4
	v_cvt_f32_u32_e32 v4, s69
	s_abs_i32 s71, s11
	v_mul_lo_u32 v3, s0, v1
	v_mul_f32_e32 v2, 0x4f7ffffe, v2
	v_cvt_u32_f32_e32 v2, v2
	s_sub_i32 s0, 0, s67
	v_mul_hi_u32 v3, v1, v3
	v_rcp_iflag_f32_e32 v4, v4
	v_mul_lo_u32 v5, s0, v2
	s_abs_i32 s72, s19
	v_add_u32_e32 v10, v1, v3
	v_mul_f32_e32 v3, 0x4f7ffffe, v4
	v_cvt_f32_u32_e32 v4, s71
	v_mul_hi_u32 v1, v2, v5
	v_cvt_f32_u32_e32 v5, s72
	v_cvt_u32_f32_e32 v3, v3
	v_rcp_iflag_f32_e32 v4, v4
	v_add_u32_e32 v11, v2, v1
	v_rcp_iflag_f32_e32 v1, v5
	s_sub_i32 s0, 0, s69
	v_mul_f32_e32 v4, 0x4f7ffffe, v4
	v_cvt_u32_f32_e32 v4, v4
	v_mul_f32_e32 v1, 0x4f7ffffe, v1
	v_mul_lo_u32 v12, s0, v3
	v_cvt_u32_f32_e32 v1, v1
	s_sub_i32 s0, 0, s71
	v_mul_lo_u32 v5, s0, v4
	s_sub_i32 s0, 0, s72
	v_mul_hi_u32 v2, v3, v12
	v_mul_lo_u32 v13, s0, v1
	v_mul_hi_u32 v5, v4, v5
	v_cvt_f32_i32_e32 v6, s8
	v_add_u32_e32 v12, v3, v2
	v_mul_hi_u32 v2, v1, v13
	v_cvt_f32_i32_e32 v7, s9
	s_mul_i32 s3, s23, s18
	s_mul_i32 s59, s23, s22
	;; [unrolled: 1-line block ×9, first 2 shown]
	s_add_i32 s61, s9, -1
	s_add_i32 s8, s8, -1
	s_mul_i32 s63, s63, s2
	s_ashr_i32 s64, s23, 31
	s_ashr_i32 s66, s22, 31
	;; [unrolled: 1-line block ×6, first 2 shown]
	v_add_u32_e32 v13, v4, v5
	s_ashr_i32 s74, s19, 31
	v_add_u32_e32 v14, v1, v2
	s_mul_i32 s75, s55, s0
	s_mov_b64 s[4:5], 0
	s_branch .LBB2_3
.LBB2_2:                                ;   in Loop: Header=BB2_3 Depth=1
	s_or_b64 exec, exec, s[0:1]
	v_add_u32_e32 v0, s63, v0
	v_cmp_le_i32_e32 vcc, s33, v0
	s_or_b64 s[4:5], vcc, s[4:5]
	s_andn2_b64 exec, exec, s[4:5]
	s_cbranch_execz .LBB2_47
.LBB2_3:                                ; =>This Loop Header: Depth=1
                                        ;     Child Loop BB2_8 Depth 2
	v_sub_u32_e32 v1, 0, v0
	v_max_i32_e32 v2, v0, v1
	v_mul_hi_u32 v3, v2, v8
	v_ashrrev_i32_e32 v1, 31, v0
	v_xor_b32_e32 v5, s64, v1
	v_mov_b32_e32 v25, 0
	v_mul_lo_u32 v4, v3, s60
	v_add_u32_e32 v15, 1, v3
	v_sub_u32_e32 v2, v2, v4
	v_cmp_le_u32_e32 vcc, s60, v2
	v_subrev_u32_e32 v4, s60, v2
	v_cndmask_b32_e32 v3, v3, v15, vcc
	v_cndmask_b32_e32 v2, v2, v4, vcc
	v_add_u32_e32 v4, 1, v3
	v_cmp_le_u32_e32 vcc, s60, v2
	v_cndmask_b32_e32 v2, v3, v4, vcc
	v_xor_b32_e32 v2, v2, v5
	v_sub_u32_e32 v15, v2, v5
	v_sub_u32_e32 v2, 0, v15
	v_max_i32_e32 v2, v15, v2
	v_mul_hi_u32 v3, v2, v9
	v_ashrrev_i32_e32 v5, 31, v15
	v_xor_b32_e32 v5, s66, v5
	v_mul_lo_u32 v4, v3, s62
	v_add_u32_e32 v16, 1, v3
	v_sub_u32_e32 v2, v2, v4
	v_cmp_le_u32_e32 vcc, s62, v2
	v_subrev_u32_e32 v4, s62, v2
	v_cndmask_b32_e32 v3, v3, v16, vcc
	v_cndmask_b32_e32 v2, v2, v4, vcc
	v_add_u32_e32 v4, 1, v3
	v_cmp_le_u32_e32 vcc, s62, v2
	v_cndmask_b32_e32 v2, v3, v4, vcc
	v_xor_b32_e32 v31, v2, v5
	v_sub_u32_e32 v16, v31, v5
	v_sub_u32_e32 v2, 0, v16
	v_max_i32_e32 v2, v16, v2
	v_mul_hi_u32 v3, v2, v10
	v_ashrrev_i32_e32 v17, 31, v16
	v_xor_b32_e32 v32, s68, v17
	v_mul_lo_u32 v4, v3, s65
	v_add_u32_e32 v17, 1, v3
	v_sub_u32_e32 v2, v2, v4
	v_cmp_le_u32_e32 vcc, s65, v2
	v_subrev_u32_e32 v4, s65, v2
	v_cndmask_b32_e32 v3, v3, v17, vcc
	v_cndmask_b32_e32 v2, v2, v4, vcc
	v_add_u32_e32 v4, 1, v3
	v_cmp_le_u32_e32 vcc, s65, v2
	v_cndmask_b32_e32 v2, v3, v4, vcc
	v_xor_b32_e32 v33, v2, v32
	v_sub_u32_e32 v2, v33, v32
	v_mul_lo_u32 v3, v2, s20
	v_sub_u32_e32 v17, v16, v3
	v_sub_u32_e32 v3, 0, v17
	v_max_i32_e32 v3, v17, v3
	v_mul_hi_u32 v4, v3, v11
	v_ashrrev_i32_e32 v19, 31, v17
	v_xor_b32_e32 v19, s70, v19
	v_mul_lo_u32 v18, v4, s67
	v_add_u32_e32 v20, 1, v4
	v_sub_u32_e32 v3, v3, v18
	v_cmp_le_u32_e32 vcc, s67, v3
	v_subrev_u32_e32 v18, s67, v3
	v_cndmask_b32_e32 v4, v4, v20, vcc
	v_cndmask_b32_e32 v3, v3, v18, vcc
	v_add_u32_e32 v18, 1, v4
	v_cmp_le_u32_e32 vcc, s67, v3
	v_cndmask_b32_e32 v3, v4, v18, vcc
	v_xor_b32_e32 v3, v3, v19
	v_sub_u32_e32 v4, v3, v19
	v_mad_u64_u32 v[2:3], s[0:1], v2, s21, v[4:5]
	v_mul_lo_u32 v3, s54, v4
	v_mov_b32_e32 v20, 0
	v_mul_lo_u32 v18, s55, v2
	v_sub_u32_e32 v3, v17, v3
	v_lshrrev_b32_e32 v19, 31, v3
	v_add_u32_e32 v19, v3, v19
	v_ashrrev_i32_e32 v19, 1, v19
	v_cmp_gt_i32_e32 vcc, s18, v19
	s_and_saveexec_b64 s[6:7], vcc
	s_cbranch_execz .LBB2_45
; %bb.4:                                ;   in Loop: Header=BB2_3 Depth=1
	v_mul_lo_u32 v21, v2, s18
	v_mov_b32_e32 v25, s25
	v_mul_lo_u32 v28, s59, v18
	s_mov_b32 s34, 0
	v_sub_u32_e32 v20, 0, v21
	v_max_i32_e32 v22, v21, v20
	v_mul_hi_u32 v23, v22, v12
	v_mul_lo_u32 v20, s56, v4
	v_ashrrev_i32_e32 v21, 31, v21
	v_xor_b32_e32 v21, s10, v21
	v_mul_lo_u32 v4, v23, s69
	v_add_u32_e32 v24, 1, v23
	v_ashrrev_i32_e32 v29, 31, v28
	v_lshlrev_b64 v[28:29], 2, v[28:29]
	v_sub_u32_e32 v4, v22, v4
	v_cmp_le_u32_e32 vcc, s69, v4
	v_cndmask_b32_e32 v22, v23, v24, vcc
	v_subrev_u32_e32 v23, s69, v4
	v_cndmask_b32_e32 v4, v4, v23, vcc
	v_add_u32_e32 v23, 1, v22
	v_cmp_le_u32_e32 vcc, s69, v4
	v_cndmask_b32_e32 v4, v22, v23, vcc
	v_xor_b32_e32 v4, v4, v21
	v_sub_u32_e32 v4, v4, v21
	v_sub_u32_e32 v21, 0, v4
	v_max_i32_e32 v23, v4, v21
	v_mul_hi_u32 v24, v23, v13
	v_ashrrev_i32_e32 v21, 31, v20
	v_lshlrev_b64 v[21:22], 2, v[20:21]
	v_ashrrev_i32_e32 v4, 31, v4
	v_mul_lo_u32 v20, v24, s71
	v_add_u32_e32 v26, 1, v24
	v_xor_b32_e32 v4, s73, v4
	s_mov_b64 s[40:41], 0
	v_sub_u32_e32 v20, v23, v20
	v_cmp_le_u32_e32 vcc, s71, v20
	v_cndmask_b32_e32 v23, v24, v26, vcc
	v_subrev_u32_e32 v24, s71, v20
	v_cndmask_b32_e32 v20, v20, v24, vcc
	v_add_u32_e32 v24, 1, v23
	v_cmp_le_u32_e32 vcc, s71, v20
	v_cndmask_b32_e32 v20, v23, v24, vcc
	v_xor_b32_e32 v20, v20, v4
	v_sub_u32_e32 v4, v20, v4
	v_mul_lo_u32 v23, s57, v4
	v_add_co_u32_e32 v21, vcc, s24, v21
	v_addc_co_u32_e32 v22, vcc, v25, v22, vcc
	v_mul_lo_u32 v25, s58, v2
	v_ashrrev_i32_e32 v24, 31, v23
	v_lshlrev_b64 v[23:24], 2, v[23:24]
	v_mov_b32_e32 v4, s27
	v_ashrrev_i32_e32 v26, 31, v25
	v_add_co_u32_e32 v23, vcc, s26, v23
	v_lshlrev_b64 v[26:27], 2, v[25:26]
	v_addc_co_u32_e32 v24, vcc, v4, v24, vcc
	v_mov_b32_e32 v2, s29
	v_add_co_u32_e32 v26, vcc, s28, v26
	v_mul_lo_u32 v4, s19, v19
	v_addc_co_u32_e32 v27, vcc, v2, v27, vcc
	v_mov_b32_e32 v2, s31
	v_add_co_u32_e32 v28, vcc, s30, v28
	v_addc_co_u32_e32 v29, vcc, v2, v29, vcc
	v_lshlrev_b32_e32 v2, 1, v19
	v_sub_u32_e32 v30, v3, v2
	v_add3_u32 v2, v33, v5, v4
	v_sub_u32_e32 v2, v2, v32
	v_sub_u32_e32 v2, v2, v31
	v_mad_u64_u32 v[2:3], s[0:1], s59, v2, v[0:1]
	v_mov_b32_e32 v25, 0
	v_mov_b32_e32 v20, 0
	;; [unrolled: 1-line block ×3, first 2 shown]
	s_branch .LBB2_8
.LBB2_5:                                ;   in Loop: Header=BB2_8 Depth=2
	s_or_b64 exec, exec, s[0:1]
.LBB2_6:                                ;   in Loop: Header=BB2_8 Depth=2
	s_or_b64 exec, exec, s[44:45]
.LBB2_7:                                ;   in Loop: Header=BB2_8 Depth=2
	s_or_b64 exec, exec, s[42:43]
	v_lshlrev_b64 v[3:4], 2, v[2:3]
	v_add_u32_e32 v31, s55, v31
	v_add_co_u32_e32 v3, vcc, v21, v3
	v_addc_co_u32_e32 v4, vcc, v22, v4, vcc
	global_load_dword v3, v[3:4], off
	s_add_i32 s34, s34, s57
	v_cmp_le_i32_e32 vcc, s18, v31
	s_or_b64 s[40:41], vcc, s[40:41]
	v_add_u32_e32 v2, s75, v2
	s_waitcnt vmcnt(0)
	v_mul_f32_e32 v3, v34, v3
	v_fmac_f32_e32 v25, v32, v3
	s_andn2_b64 exec, exec, s[40:41]
	s_cbranch_execz .LBB2_44
.LBB2_8:                                ;   Parent Loop BB2_3 Depth=1
                                        ; =>  This Inner Loop Header: Depth=2
	v_sub_u32_e32 v3, 0, v2
	v_max_i32_e32 v4, v2, v3
	v_mul_hi_u32 v5, v4, v8
	v_ashrrev_i32_e32 v3, 31, v2
	v_xor_b32_e32 v33, s64, v3
	v_mul_lo_u32 v32, v5, s60
	v_add_u32_e32 v34, 1, v5
	v_sub_u32_e32 v4, v4, v32
	v_cmp_le_u32_e32 vcc, s60, v4
	v_subrev_u32_e32 v32, s60, v4
	v_cndmask_b32_e32 v5, v5, v34, vcc
	v_cndmask_b32_e32 v4, v4, v32, vcc
	v_add_u32_e32 v32, 1, v5
	v_cmp_le_u32_e32 vcc, s60, v4
	v_cndmask_b32_e32 v4, v5, v32, vcc
	v_xor_b32_e32 v4, v4, v33
	v_sub_u32_e32 v34, v4, v33
	v_sub_u32_e32 v4, 0, v34
	v_max_i32_e32 v4, v34, v4
	v_mul_hi_u32 v5, v4, v9
	v_ashrrev_i32_e32 v33, 31, v34
	v_xor_b32_e32 v33, s66, v33
	v_mul_lo_u32 v32, v5, s62
	v_add_u32_e32 v35, 1, v5
	v_sub_u32_e32 v4, v4, v32
	v_cmp_le_u32_e32 vcc, s62, v4
	v_subrev_u32_e32 v32, s62, v4
	v_cndmask_b32_e32 v5, v5, v35, vcc
	v_cndmask_b32_e32 v4, v4, v32, vcc
	v_add_u32_e32 v32, 1, v5
	v_cmp_le_u32_e32 vcc, s62, v4
	v_cndmask_b32_e32 v4, v5, v32, vcc
	v_xor_b32_e32 v4, v4, v33
	v_sub_u32_e32 v5, v4, v33
	;; [unrolled: 17-line block ×4, first 2 shown]
	v_sub_u32_e32 v33, 0, v32
	v_max_i32_e32 v33, v32, v33
	v_mul_hi_u32 v35, v33, v12
	v_mul_lo_u32 v36, v32, s11
	v_ashrrev_i32_e32 v32, 31, v32
	v_mul_lo_u32 v35, v35, s69
	v_sub_u32_e32 v4, v4, v36
	v_sub_u32_e32 v33, v33, v35
	v_subrev_u32_e32 v35, s69, v33
	v_cmp_le_u32_e32 vcc, s69, v33
	v_cndmask_b32_e32 v33, v33, v35, vcc
	v_subrev_u32_e32 v35, s69, v33
	v_cmp_le_u32_e32 vcc, s69, v33
	v_cndmask_b32_e32 v33, v33, v35, vcc
	v_xor_b32_e32 v33, v33, v32
	v_sub_u32_e32 v38, v33, v32
	v_mad_u64_u32 v[32:33], s[0:1], v38, s11, v[4:5]
	v_mul_lo_u32 v35, v5, s22
	v_mul_lo_u32 v33, v34, s23
	v_mul_lo_u32 v36, v32, s22
	v_mul_lo_u32 v4, v4, s17
	v_sub_u32_e32 v39, v34, v35
	v_sub_u32_e32 v5, v2, v33
	v_lshl_add_u32 v34, v36, 1, v39
	v_mad_u64_u32 v[32:33], s[0:1], v34, s23, v[5:6]
	v_add_u32_e32 v33, s22, v34
	v_mad_u64_u32 v[34:35], s[0:1], v33, s23, v[5:6]
	v_add_u32_e32 v33, v36, v39
	v_mad_u64_u32 v[36:37], s[0:1], v33, s23, v[5:6]
	v_ashrrev_i32_e32 v33, 31, v32
	v_lshlrev_b64 v[32:33], 2, v[32:33]
	v_ashrrev_i32_e32 v35, 31, v34
	v_add_co_u32_e32 v32, vcc, v26, v32
	v_lshlrev_b64 v[34:35], 2, v[34:35]
	v_addc_co_u32_e32 v33, vcc, v27, v33, vcc
	v_add_co_u32_e32 v34, vcc, v26, v34
	v_addc_co_u32_e32 v35, vcc, v27, v35, vcc
	global_load_dword v40, v[32:33], off
	s_nop 0
	global_load_dword v35, v[34:35], off
	v_ashrrev_i32_e32 v37, 31, v36
	v_lshlrev_b64 v[32:33], 2, v[36:37]
	v_subrev_u32_e32 v4, s13, v4
	v_add_co_u32_e32 v32, vcc, v28, v32
	v_addc_co_u32_e32 v33, vcc, v29, v33, vcc
	global_load_dword v32, v[32:33], off
	v_mul_lo_u32 v33, v38, s16
	v_mad_u64_u32 v[4:5], s[0:1], v5, s15, v[4:5]
	v_subrev_u32_e32 v33, s12, v33
	v_mad_u64_u32 v[33:34], s[0:1], v39, s14, v[33:34]
	v_cvt_f32_i32_e32 v4, v4
	v_cvt_f32_i32_e32 v5, v33
	s_waitcnt vmcnt(2)
	v_add_f32_e32 v33, v40, v5
	s_waitcnt vmcnt(1)
	v_add_f32_e32 v34, v35, v4
	v_max_f32_e32 v4, v34, v34
	v_cmp_ge_f32_e32 vcc, v33, v6
	v_cmp_ge_f32_e64 s[0:1], v34, v7
	v_min_f32_e32 v4, v33, v4
	v_cmp_ge_f32_e64 s[2:3], -1.0, v4
	s_or_b64 s[0:1], vcc, s[0:1]
	s_or_b64 s[0:1], s[0:1], s[2:3]
	s_and_saveexec_b64 s[2:3], s[0:1]
	s_xor_b64 s[0:1], exec, s[2:3]
; %bb.9:                                ;   in Loop: Header=BB2_8 Depth=2
	s_ashr_i32 s35, s34, 31
                                        ; implicit-def: $vgpr34
                                        ; implicit-def: $vgpr33
; %bb.10:                               ;   in Loop: Header=BB2_8 Depth=2
	s_or_saveexec_b64 s[42:43], s[0:1]
	v_mov_b32_e32 v4, s34
	v_mov_b32_e32 v38, -2.0
	v_mov_b32_e32 v5, s35
	v_mov_b32_e32 v37, -2.0
	s_xor_b64 exec, exec, s[42:43]
	s_cbranch_execz .LBB2_20
; %bb.11:                               ;   in Loop: Header=BB2_8 Depth=2
	v_lshlrev_b64 v[4:5], 2, v[2:3]
	s_ashr_i32 s35, s34, 31
	v_add_co_u32_e32 v4, vcc, v21, v4
	v_addc_co_u32_e32 v5, vcc, v22, v5, vcc
	global_load_dword v5, v[4:5], off
	v_floor_f32_e32 v4, v33
	v_cvt_i32_f32_e32 v35, v4
	v_floor_f32_e32 v4, v34
	v_cvt_i32_f32_e32 v4, v4
	s_lshl_b64 s[0:1], s[34:35], 2
	v_mov_b32_e32 v36, s1
	v_add_co_u32_e32 v38, vcc, s0, v23
	v_addc_co_u32_e32 v39, vcc, v24, v36, vcc
	v_or_b32_e32 v36, v35, v4
	v_cmp_lt_i32_e64 s[2:3], -1, v35
	v_cmp_lt_i32_e32 vcc, -1, v4
	v_cmp_lt_i32_e64 s[0:1], -1, v36
	v_mov_b32_e32 v37, 0
	v_mov_b32_e32 v36, 0
	s_and_saveexec_b64 s[44:45], s[0:1]
	s_cbranch_execz .LBB2_13
; %bb.12:                               ;   in Loop: Header=BB2_8 Depth=2
	s_waitcnt vmcnt(0)
	v_mad_u64_u32 v[40:41], s[0:1], s9, v35, v[4:5]
	v_ashrrev_i32_e32 v41, 31, v40
	v_lshlrev_b64 v[40:41], 2, v[40:41]
	v_add_co_u32_e64 v40, s[0:1], v38, v40
	v_addc_co_u32_e64 v41, s[0:1], v39, v41, s[0:1]
	global_load_dword v36, v[40:41], off
.LBB2_13:                               ;   in Loop: Header=BB2_8 Depth=2
	s_or_b64 exec, exec, s[44:45]
	v_cmp_gt_i32_e64 s[0:1], s61, v4
	s_and_b64 s[2:3], s[2:3], s[0:1]
	v_ashrrev_i32_e32 v40, 31, v4
	s_and_saveexec_b64 s[44:45], s[2:3]
	s_cbranch_execz .LBB2_15
; %bb.14:                               ;   in Loop: Header=BB2_8 Depth=2
	v_mul_lo_u32 v37, s9, v35
	v_ashrrev_i32_e32 v42, 31, v37
	v_add_co_u32_e64 v41, s[2:3], v37, v4
	v_addc_co_u32_e64 v42, s[2:3], v42, v40, s[2:3]
	v_lshlrev_b64 v[41:42], 2, v[41:42]
	v_add_co_u32_e64 v41, s[2:3], v38, v41
	v_addc_co_u32_e64 v42, s[2:3], v39, v42, s[2:3]
	global_load_dword v37, v[41:42], off offset:4
.LBB2_15:                               ;   in Loop: Header=BB2_8 Depth=2
	s_or_b64 exec, exec, s[44:45]
	v_cmp_gt_i32_e64 s[2:3], s8, v35
	v_add_u32_e32 v43, 1, v35
	s_and_b64 s[46:47], s[2:3], vcc
	v_mov_b32_e32 v41, 0
	v_mov_b32_e32 v42, 0
	s_and_saveexec_b64 s[44:45], s[46:47]
	s_cbranch_execz .LBB2_17
; %bb.16:                               ;   in Loop: Header=BB2_8 Depth=2
	s_waitcnt vmcnt(0)
	v_mad_u64_u32 v[44:45], s[46:47], v43, s9, v[4:5]
	v_ashrrev_i32_e32 v45, 31, v44
	v_lshlrev_b64 v[44:45], 2, v[44:45]
	v_add_co_u32_e32 v44, vcc, v38, v44
	v_addc_co_u32_e32 v45, vcc, v39, v45, vcc
	global_load_dword v42, v[44:45], off
.LBB2_17:                               ;   in Loop: Header=BB2_8 Depth=2
	s_or_b64 exec, exec, s[44:45]
	s_and_b64 s[2:3], s[2:3], s[0:1]
	s_and_saveexec_b64 s[0:1], s[2:3]
	s_cbranch_execz .LBB2_19
; %bb.18:                               ;   in Loop: Header=BB2_8 Depth=2
	v_mul_lo_u32 v41, v43, s9
	v_ashrrev_i32_e32 v44, 31, v41
	v_add_co_u32_e32 v43, vcc, v41, v4
	v_addc_co_u32_e32 v44, vcc, v44, v40, vcc
	v_lshlrev_b64 v[40:41], 2, v[43:44]
	v_add_co_u32_e32 v38, vcc, v38, v40
	v_addc_co_u32_e32 v39, vcc, v39, v41, vcc
	global_load_dword v41, v[38:39], off offset:4
.LBB2_19:                               ;   in Loop: Header=BB2_8 Depth=2
	s_or_b64 exec, exec, s[0:1]
	v_cvt_f32_i32_e32 v4, v4
	v_cvt_f32_i32_e32 v35, v35
	v_sub_f32_e32 v4, v34, v4
	v_sub_f32_e32 v35, v33, v35
	v_sub_f32_e32 v38, 1.0, v4
	v_sub_f32_e32 v39, 1.0, v35
	v_mul_f32_e32 v40, v38, v39
	v_mul_f32_e32 v39, v4, v39
	v_mul_f32_e32 v38, v35, v38
	v_mul_f32_e32 v4, v4, v35
	s_waitcnt vmcnt(0)
	v_mul_f32_e32 v35, v39, v37
	v_fmac_f32_e32 v35, v40, v36
	v_fmac_f32_e32 v35, v38, v42
	;; [unrolled: 1-line block ×4, first 2 shown]
	v_mov_b32_e32 v4, s34
	v_mov_b32_e32 v5, s35
	;; [unrolled: 1-line block ×4, first 2 shown]
.LBB2_20:                               ;   in Loop: Header=BB2_8 Depth=2
	s_or_b64 exec, exec, s[42:43]
	v_cmp_nge_f32_e32 vcc, -1.0, v37
	v_mov_b32_e32 v34, 0
	s_and_saveexec_b64 s[42:43], vcc
	s_cbranch_execz .LBB2_7
; %bb.21:                               ;   in Loop: Header=BB2_8 Depth=2
	v_cmp_nge_f32_e32 vcc, v37, v6
	v_cmp_nge_f32_e64 s[2:3], v38, v7
	v_cmp_nge_f32_e64 s[0:1], -1.0, v38
	s_and_b64 s[2:3], vcc, s[2:3]
	s_and_b64 s[0:1], s[2:3], s[0:1]
	v_mov_b32_e32 v34, 0
	s_and_saveexec_b64 s[44:45], s[0:1]
	s_cbranch_execz .LBB2_6
; %bb.22:                               ;   in Loop: Header=BB2_8 Depth=2
	v_floor_f32_e32 v33, v37
	v_cvt_i32_f32_e32 v36, v33
	v_floor_f32_e32 v35, v38
	v_lshlrev_b64 v[33:34], 2, v[4:5]
	v_cvt_i32_f32_e32 v4, v35
	v_add_co_u32_e32 v5, vcc, v23, v33
	v_addc_co_u32_e32 v33, vcc, v24, v34, vcc
	v_add_u32_e32 v35, 1, v36
	v_cmp_lt_i32_e32 vcc, 0, v30
	s_mov_b64 s[46:47], 0
                                        ; implicit-def: $vgpr34
	s_and_saveexec_b64 s[0:1], vcc
	s_xor_b64 s[48:49], exec, s[0:1]
	s_cbranch_execnz .LBB2_25
; %bb.23:                               ;   in Loop: Header=BB2_8 Depth=2
	s_andn2_saveexec_b64 s[48:49], s[48:49]
	s_cbranch_execnz .LBB2_34
.LBB2_24:                               ;   in Loop: Header=BB2_8 Depth=2
	s_or_b64 exec, exec, s[48:49]
	s_and_saveexec_b64 s[0:1], s[46:47]
	s_cbranch_execz .LBB2_5
	s_branch .LBB2_43
.LBB2_25:                               ;   in Loop: Header=BB2_8 Depth=2
	v_cmp_eq_u32_e32 vcc, 1, v30
	s_mov_b64 s[0:1], 0
	v_mov_b32_e32 v34, 0
	s_and_saveexec_b64 s[46:47], vcc
	s_cbranch_execz .LBB2_33
; %bb.26:                               ;   in Loop: Header=BB2_8 Depth=2
	v_cvt_f32_u32_e32 v38, v35
	v_or_b32_e32 v34, v36, v4
	v_cmp_lt_i32_e64 s[2:3], -1, v36
	v_cmp_lt_i32_e32 vcc, -1, v4
	v_cmp_lt_i32_e64 s[0:1], -1, v34
	v_mov_b32_e32 v34, 0
	v_sub_f32_e32 v38, v38, v37
	s_and_saveexec_b64 s[50:51], s[0:1]
	s_cbranch_execz .LBB2_28
; %bb.27:                               ;   in Loop: Header=BB2_8 Depth=2
	v_mad_u64_u32 v[39:40], s[0:1], s9, v36, v[4:5]
	v_ashrrev_i32_e32 v40, 31, v39
	v_lshlrev_b64 v[39:40], 2, v[39:40]
	v_add_co_u32_e64 v39, s[0:1], v5, v39
	v_addc_co_u32_e64 v40, s[0:1], v33, v40, s[0:1]
	global_load_dword v34, v[39:40], off
	s_waitcnt vmcnt(0)
	v_fma_f32 v34, -v38, v34, 0
.LBB2_28:                               ;   in Loop: Header=BB2_8 Depth=2
	s_or_b64 exec, exec, s[50:51]
	v_cmp_gt_i32_e64 s[0:1], s61, v4
	s_and_b64 s[2:3], s[2:3], s[0:1]
	s_and_saveexec_b64 s[50:51], s[2:3]
	s_cbranch_execz .LBB2_30
; %bb.29:                               ;   in Loop: Header=BB2_8 Depth=2
	v_mul_lo_u32 v39, s9, v36
	v_ashrrev_i32_e32 v40, 31, v4
	v_ashrrev_i32_e32 v41, 31, v39
	v_add_co_u32_e64 v39, s[2:3], v4, v39
	v_addc_co_u32_e64 v40, s[2:3], v40, v41, s[2:3]
	v_lshlrev_b64 v[39:40], 2, v[39:40]
	v_add_co_u32_e64 v39, s[2:3], v5, v39
	v_addc_co_u32_e64 v40, s[2:3], v33, v40, s[2:3]
	global_load_dword v39, v[39:40], off offset:4
	s_waitcnt vmcnt(0)
	v_fmac_f32_e32 v34, v38, v39
.LBB2_30:                               ;   in Loop: Header=BB2_8 Depth=2
	s_or_b64 exec, exec, s[50:51]
	v_cmp_gt_i32_e64 s[2:3], s8, v36
	s_and_b64 s[52:53], s[2:3], vcc
	s_and_saveexec_b64 s[50:51], s[52:53]
	s_cbranch_execz .LBB2_32
; %bb.31:                               ;   in Loop: Header=BB2_8 Depth=2
	v_mad_u64_u32 v[38:39], s[52:53], v35, s9, v[4:5]
	v_ashrrev_i32_e32 v39, 31, v38
	v_lshlrev_b64 v[38:39], 2, v[38:39]
	v_add_co_u32_e32 v38, vcc, v5, v38
	v_addc_co_u32_e32 v39, vcc, v33, v39, vcc
	global_load_dword v38, v[38:39], off
	v_cvt_f32_i32_e32 v39, v36
	v_sub_f32_e32 v39, v37, v39
	s_waitcnt vmcnt(0)
	v_fma_f32 v34, -v39, v38, v34
.LBB2_32:                               ;   in Loop: Header=BB2_8 Depth=2
	s_or_b64 exec, exec, s[50:51]
	s_and_b64 s[0:1], s[2:3], s[0:1]
	s_and_b64 s[0:1], s[0:1], exec
.LBB2_33:                               ;   in Loop: Header=BB2_8 Depth=2
	s_or_b64 exec, exec, s[46:47]
	s_and_b64 s[46:47], s[0:1], exec
                                        ; implicit-def: $vgpr38
	s_andn2_saveexec_b64 s[48:49], s[48:49]
	s_cbranch_execz .LBB2_24
.LBB2_34:                               ;   in Loop: Header=BB2_8 Depth=2
	v_cmp_eq_u32_e32 vcc, 0, v30
	v_mov_b32_e32 v34, 0
	s_mov_b64 s[0:1], s[46:47]
	s_and_saveexec_b64 s[50:51], vcc
	s_cbranch_execz .LBB2_42
; %bb.35:                               ;   in Loop: Header=BB2_8 Depth=2
	v_add_u32_e32 v34, 1, v4
	v_cvt_f32_u32_e32 v39, v34
	v_or_b32_e32 v37, v36, v4
	v_cmp_lt_i32_e64 s[2:3], -1, v36
	v_cmp_lt_i32_e32 vcc, -1, v4
	v_cmp_lt_i32_e64 s[0:1], -1, v37
	v_mov_b32_e32 v34, 0
	v_sub_f32_e32 v37, v39, v38
	s_and_saveexec_b64 s[52:53], s[0:1]
	s_cbranch_execz .LBB2_37
; %bb.36:                               ;   in Loop: Header=BB2_8 Depth=2
	v_mad_u64_u32 v[39:40], s[0:1], s9, v36, v[4:5]
	v_ashrrev_i32_e32 v40, 31, v39
	v_lshlrev_b64 v[39:40], 2, v[39:40]
	v_add_co_u32_e64 v39, s[0:1], v5, v39
	v_addc_co_u32_e64 v40, s[0:1], v33, v40, s[0:1]
	global_load_dword v34, v[39:40], off
	s_waitcnt vmcnt(0)
	v_fma_f32 v34, -v37, v34, 0
.LBB2_37:                               ;   in Loop: Header=BB2_8 Depth=2
	s_or_b64 exec, exec, s[52:53]
	v_cmp_gt_i32_e64 s[0:1], s61, v4
	s_and_b64 s[2:3], s[2:3], s[0:1]
	s_and_saveexec_b64 s[52:53], s[2:3]
	s_cbranch_execz .LBB2_39
; %bb.38:                               ;   in Loop: Header=BB2_8 Depth=2
	v_mul_lo_u32 v39, s9, v36
	v_ashrrev_i32_e32 v40, 31, v4
	v_ashrrev_i32_e32 v41, 31, v39
	v_add_co_u32_e64 v39, s[2:3], v4, v39
	v_addc_co_u32_e64 v40, s[2:3], v40, v41, s[2:3]
	v_lshlrev_b64 v[39:40], 2, v[39:40]
	v_add_co_u32_e64 v39, s[2:3], v5, v39
	v_addc_co_u32_e64 v40, s[2:3], v33, v40, s[2:3]
	global_load_dword v39, v[39:40], off offset:4
	v_cvt_f32_i32_e32 v40, v4
	v_sub_f32_e32 v40, v38, v40
	s_waitcnt vmcnt(0)
	v_fma_f32 v34, -v40, v39, v34
.LBB2_39:                               ;   in Loop: Header=BB2_8 Depth=2
	s_or_b64 exec, exec, s[52:53]
	v_cmp_gt_i32_e64 s[2:3], s8, v36
	s_and_b64 s[76:77], s[2:3], vcc
	s_and_saveexec_b64 s[52:53], s[76:77]
	s_cbranch_execz .LBB2_41
; %bb.40:                               ;   in Loop: Header=BB2_8 Depth=2
	v_mad_u64_u32 v[39:40], s[76:77], v35, s9, v[4:5]
	v_ashrrev_i32_e32 v40, 31, v39
	v_lshlrev_b64 v[39:40], 2, v[39:40]
	v_add_co_u32_e32 v39, vcc, v5, v39
	v_addc_co_u32_e32 v40, vcc, v33, v40, vcc
	global_load_dword v36, v[39:40], off
	s_waitcnt vmcnt(0)
	v_fmac_f32_e32 v34, v37, v36
.LBB2_41:                               ;   in Loop: Header=BB2_8 Depth=2
	s_or_b64 exec, exec, s[52:53]
	s_and_b64 s[0:1], s[2:3], s[0:1]
	s_andn2_b64 s[2:3], s[46:47], exec
	s_and_b64 s[0:1], s[0:1], exec
	s_or_b64 s[0:1], s[2:3], s[0:1]
.LBB2_42:                               ;   in Loop: Header=BB2_8 Depth=2
	s_or_b64 exec, exec, s[50:51]
	s_andn2_b64 s[2:3], s[46:47], exec
	s_and_b64 s[0:1], s[0:1], exec
	s_or_b64 s[46:47], s[2:3], s[0:1]
	v_mov_b32_e32 v37, v38
	v_mov_b32_e32 v36, v4
	s_or_b64 exec, exec, s[48:49]
	s_and_saveexec_b64 s[0:1], s[46:47]
	s_cbranch_execz .LBB2_5
.LBB2_43:                               ;   in Loop: Header=BB2_8 Depth=2
	v_mul_lo_u32 v35, v35, s9
	v_ashrrev_i32_e32 v39, 31, v4
	v_ashrrev_i32_e32 v40, 31, v35
	v_add_co_u32_e32 v38, vcc, v35, v4
	v_addc_co_u32_e32 v39, vcc, v40, v39, vcc
	v_lshlrev_b64 v[38:39], 2, v[38:39]
	v_add_co_u32_e32 v4, vcc, v5, v38
	v_addc_co_u32_e32 v5, vcc, v33, v39, vcc
	global_load_dword v4, v[4:5], off offset:4
	v_cvt_f32_i32_e32 v5, v36
	v_sub_f32_e32 v5, v37, v5
	s_waitcnt vmcnt(0)
	v_fmac_f32_e32 v34, v5, v4
	s_branch .LBB2_5
.LBB2_44:                               ;   in Loop: Header=BB2_3 Depth=1
	s_or_b64 exec, exec, s[40:41]
.LBB2_45:                               ;   in Loop: Header=BB2_3 Depth=1
	s_or_b64 exec, exec, s[6:7]
	v_lshlrev_b64 v[1:2], 2, v[0:1]
	v_mov_b32_e32 v3, s37
	v_add_co_u32_e32 v1, vcc, s36, v1
	v_addc_co_u32_e32 v2, vcc, v3, v2, vcc
	global_store_dword v[1:2], v25, off
	v_and_b32_e32 v1, 1, v17
	v_cmp_eq_u32_e32 vcc, 0, v1
	s_and_saveexec_b64 s[0:1], vcc
	s_cbranch_execz .LBB2_2
; %bb.46:                               ;   in Loop: Header=BB2_3 Depth=1
	v_mul_lo_u32 v1, v16, s22
	v_mul_lo_u32 v3, v15, s23
	v_add_u32_e32 v2, v19, v18
	v_sub_u32_e32 v1, v15, v1
	v_mad_u64_u32 v[1:2], s[2:3], v2, s22, v[1:2]
	v_sub_u32_e32 v2, v0, v3
	v_mad_u64_u32 v[1:2], s[2:3], v1, s23, v[2:3]
	v_mov_b32_e32 v3, s39
	v_ashrrev_i32_e32 v2, 31, v1
	v_lshlrev_b64 v[1:2], 2, v[1:2]
	v_add_co_u32_e32 v1, vcc, s38, v1
	v_addc_co_u32_e32 v2, vcc, v3, v2, vcc
	global_store_dword v[1:2], v20, off
	s_branch .LBB2_2
.LBB2_47:
	s_endpgm
	.section	.rodata,"a",@progbits
	.p2align	6, 0x0
	.amdhsa_kernel _Z44modulated_deformable_col2im_coord_gpu_kerneliPKfS0_S0_S0_iiiiiiiiiiiiiiiiiPfS1_
		.amdhsa_group_segment_fixed_size 0
		.amdhsa_private_segment_fixed_size 0
		.amdhsa_kernarg_size 384
		.amdhsa_user_sgpr_count 6
		.amdhsa_user_sgpr_private_segment_buffer 1
		.amdhsa_user_sgpr_dispatch_ptr 0
		.amdhsa_user_sgpr_queue_ptr 0
		.amdhsa_user_sgpr_kernarg_segment_ptr 1
		.amdhsa_user_sgpr_dispatch_id 0
		.amdhsa_user_sgpr_flat_scratch_init 0
		.amdhsa_user_sgpr_private_segment_size 0
		.amdhsa_uses_dynamic_stack 0
		.amdhsa_system_sgpr_private_segment_wavefront_offset 0
		.amdhsa_system_sgpr_workgroup_id_x 1
		.amdhsa_system_sgpr_workgroup_id_y 0
		.amdhsa_system_sgpr_workgroup_id_z 0
		.amdhsa_system_sgpr_workgroup_info 0
		.amdhsa_system_vgpr_workitem_id 0
		.amdhsa_next_free_vgpr 46
		.amdhsa_next_free_sgpr 78
		.amdhsa_reserve_vcc 1
		.amdhsa_reserve_flat_scratch 0
		.amdhsa_float_round_mode_32 0
		.amdhsa_float_round_mode_16_64 0
		.amdhsa_float_denorm_mode_32 3
		.amdhsa_float_denorm_mode_16_64 3
		.amdhsa_dx10_clamp 1
		.amdhsa_ieee_mode 1
		.amdhsa_fp16_overflow 0
		.amdhsa_exception_fp_ieee_invalid_op 0
		.amdhsa_exception_fp_denorm_src 0
		.amdhsa_exception_fp_ieee_div_zero 0
		.amdhsa_exception_fp_ieee_overflow 0
		.amdhsa_exception_fp_ieee_underflow 0
		.amdhsa_exception_fp_ieee_inexact 0
		.amdhsa_exception_int_div_zero 0
	.end_amdhsa_kernel
	.text
.Lfunc_end2:
	.size	_Z44modulated_deformable_col2im_coord_gpu_kerneliPKfS0_S0_S0_iiiiiiiiiiiiiiiiiPfS1_, .Lfunc_end2-_Z44modulated_deformable_col2im_coord_gpu_kerneliPKfS0_S0_S0_iiiiiiiiiiiiiiiiiPfS1_
                                        ; -- End function
	.set _Z44modulated_deformable_col2im_coord_gpu_kerneliPKfS0_S0_S0_iiiiiiiiiiiiiiiiiPfS1_.num_vgpr, 46
	.set _Z44modulated_deformable_col2im_coord_gpu_kerneliPKfS0_S0_S0_iiiiiiiiiiiiiiiiiPfS1_.num_agpr, 0
	.set _Z44modulated_deformable_col2im_coord_gpu_kerneliPKfS0_S0_S0_iiiiiiiiiiiiiiiiiPfS1_.numbered_sgpr, 78
	.set _Z44modulated_deformable_col2im_coord_gpu_kerneliPKfS0_S0_S0_iiiiiiiiiiiiiiiiiPfS1_.num_named_barrier, 0
	.set _Z44modulated_deformable_col2im_coord_gpu_kerneliPKfS0_S0_S0_iiiiiiiiiiiiiiiiiPfS1_.private_seg_size, 0
	.set _Z44modulated_deformable_col2im_coord_gpu_kerneliPKfS0_S0_S0_iiiiiiiiiiiiiiiiiPfS1_.uses_vcc, 1
	.set _Z44modulated_deformable_col2im_coord_gpu_kerneliPKfS0_S0_S0_iiiiiiiiiiiiiiiiiPfS1_.uses_flat_scratch, 0
	.set _Z44modulated_deformable_col2im_coord_gpu_kerneliPKfS0_S0_S0_iiiiiiiiiiiiiiiiiPfS1_.has_dyn_sized_stack, 0
	.set _Z44modulated_deformable_col2im_coord_gpu_kerneliPKfS0_S0_S0_iiiiiiiiiiiiiiiiiPfS1_.has_recursion, 0
	.set _Z44modulated_deformable_col2im_coord_gpu_kerneliPKfS0_S0_S0_iiiiiiiiiiiiiiiiiPfS1_.has_indirect_call, 0
	.section	.AMDGPU.csdata,"",@progbits
; Kernel info:
; codeLenInByte = 3536
; TotalNumSgprs: 82
; NumVgprs: 46
; ScratchSize: 0
; MemoryBound: 0
; FloatMode: 240
; IeeeMode: 1
; LDSByteSize: 0 bytes/workgroup (compile time only)
; SGPRBlocks: 10
; VGPRBlocks: 11
; NumSGPRsForWavesPerEU: 82
; NumVGPRsForWavesPerEU: 46
; Occupancy: 5
; WaveLimiterHint : 1
; COMPUTE_PGM_RSRC2:SCRATCH_EN: 0
; COMPUTE_PGM_RSRC2:USER_SGPR: 6
; COMPUTE_PGM_RSRC2:TRAP_HANDLER: 0
; COMPUTE_PGM_RSRC2:TGID_X_EN: 1
; COMPUTE_PGM_RSRC2:TGID_Y_EN: 0
; COMPUTE_PGM_RSRC2:TGID_Z_EN: 0
; COMPUTE_PGM_RSRC2:TIDIG_COMP_CNT: 0
	.section	.AMDGPU.gpr_maximums,"",@progbits
	.set amdgpu.max_num_vgpr, 0
	.set amdgpu.max_num_agpr, 0
	.set amdgpu.max_num_sgpr, 0
	.section	.AMDGPU.csdata,"",@progbits
	.type	__hip_cuid_b162b60173c1c486,@object ; @__hip_cuid_b162b60173c1c486
	.section	.bss,"aw",@nobits
	.globl	__hip_cuid_b162b60173c1c486
__hip_cuid_b162b60173c1c486:
	.byte	0                               ; 0x0
	.size	__hip_cuid_b162b60173c1c486, 1

	.ident	"AMD clang version 22.0.0git (https://github.com/RadeonOpenCompute/llvm-project roc-7.2.4 26084 f58b06dce1f9c15707c5f808fd002e18c2accf7e)"
	.section	".note.GNU-stack","",@progbits
	.addrsig
	.addrsig_sym __hip_cuid_b162b60173c1c486
	.amdgpu_metadata
---
amdhsa.kernels:
  - .args:
      - .offset:         0
        .size:           4
        .value_kind:     by_value
      - .address_space:  global
        .offset:         8
        .size:           8
        .value_kind:     global_buffer
      - .address_space:  global
        .offset:         16
        .size:           8
        .value_kind:     global_buffer
      - .address_space:  global
        .offset:         24
        .size:           8
        .value_kind:     global_buffer
      - .offset:         32
        .size:           4
        .value_kind:     by_value
      - .offset:         36
        .size:           4
        .value_kind:     by_value
      - .offset:         40
        .size:           4
        .value_kind:     by_value
      - .offset:         44
        .size:           4
        .value_kind:     by_value
      - .offset:         48
        .size:           4
        .value_kind:     by_value
      - .offset:         52
        .size:           4
        .value_kind:     by_value
      - .offset:         56
        .size:           4
        .value_kind:     by_value
      - .offset:         60
        .size:           4
        .value_kind:     by_value
      - .offset:         64
        .size:           4
        .value_kind:     by_value
      - .offset:         68
        .size:           4
        .value_kind:     by_value
      - .offset:         72
        .size:           4
        .value_kind:     by_value
      - .offset:         76
        .size:           4
        .value_kind:     by_value
      - .offset:         80
        .size:           4
        .value_kind:     by_value
      - .offset:         84
        .size:           4
        .value_kind:     by_value
      - .offset:         88
        .size:           4
        .value_kind:     by_value
      - .offset:         92
        .size:           4
        .value_kind:     by_value
      - .address_space:  global
        .offset:         96
        .size:           8
        .value_kind:     global_buffer
      - .offset:         104
        .size:           4
        .value_kind:     hidden_block_count_x
      - .offset:         108
        .size:           4
        .value_kind:     hidden_block_count_y
      - .offset:         112
        .size:           4
        .value_kind:     hidden_block_count_z
      - .offset:         116
        .size:           2
        .value_kind:     hidden_group_size_x
      - .offset:         118
        .size:           2
        .value_kind:     hidden_group_size_y
      - .offset:         120
        .size:           2
        .value_kind:     hidden_group_size_z
      - .offset:         122
        .size:           2
        .value_kind:     hidden_remainder_x
      - .offset:         124
        .size:           2
        .value_kind:     hidden_remainder_y
      - .offset:         126
        .size:           2
        .value_kind:     hidden_remainder_z
      - .offset:         144
        .size:           8
        .value_kind:     hidden_global_offset_x
      - .offset:         152
        .size:           8
        .value_kind:     hidden_global_offset_y
      - .offset:         160
        .size:           8
        .value_kind:     hidden_global_offset_z
      - .offset:         168
        .size:           2
        .value_kind:     hidden_grid_dims
    .group_segment_fixed_size: 0
    .kernarg_segment_align: 8
    .kernarg_segment_size: 360
    .language:       OpenCL C
    .language_version:
      - 2
      - 0
    .max_flat_workgroup_size: 1024
    .name:           _Z38modulated_deformable_im2col_gpu_kerneliPKfS0_S0_iiiiiiiiiiiiiiiiPf
    .private_segment_fixed_size: 0
    .sgpr_count:     68
    .sgpr_spill_count: 0
    .symbol:         _Z38modulated_deformable_im2col_gpu_kerneliPKfS0_S0_iiiiiiiiiiiiiiiiPf.kd
    .uniform_work_group_size: 1
    .uses_dynamic_stack: false
    .vgpr_count:     37
    .vgpr_spill_count: 0
    .wavefront_size: 64
  - .args:
      - .offset:         0
        .size:           4
        .value_kind:     by_value
      - .address_space:  global
        .offset:         8
        .size:           8
        .value_kind:     global_buffer
      - .address_space:  global
        .offset:         16
        .size:           8
        .value_kind:     global_buffer
      - .address_space:  global
        .offset:         24
        .size:           8
        .value_kind:     global_buffer
      - .offset:         32
        .size:           4
        .value_kind:     by_value
      - .offset:         36
        .size:           4
        .value_kind:     by_value
      - .offset:         40
        .size:           4
        .value_kind:     by_value
      - .offset:         44
        .size:           4
        .value_kind:     by_value
      - .offset:         48
        .size:           4
        .value_kind:     by_value
      - .offset:         52
        .size:           4
        .value_kind:     by_value
      - .offset:         56
        .size:           4
        .value_kind:     by_value
      - .offset:         60
        .size:           4
        .value_kind:     by_value
      - .offset:         64
        .size:           4
        .value_kind:     by_value
      - .offset:         68
        .size:           4
        .value_kind:     by_value
      - .offset:         72
        .size:           4
        .value_kind:     by_value
      - .offset:         76
        .size:           4
        .value_kind:     by_value
      - .offset:         80
        .size:           4
        .value_kind:     by_value
      - .offset:         84
        .size:           4
        .value_kind:     by_value
      - .offset:         88
        .size:           4
        .value_kind:     by_value
      - .offset:         92
        .size:           4
        .value_kind:     by_value
      - .address_space:  global
        .offset:         96
        .size:           8
        .value_kind:     global_buffer
      - .offset:         104
        .size:           4
        .value_kind:     hidden_block_count_x
      - .offset:         108
        .size:           4
        .value_kind:     hidden_block_count_y
      - .offset:         112
        .size:           4
        .value_kind:     hidden_block_count_z
      - .offset:         116
        .size:           2
        .value_kind:     hidden_group_size_x
      - .offset:         118
        .size:           2
        .value_kind:     hidden_group_size_y
      - .offset:         120
        .size:           2
        .value_kind:     hidden_group_size_z
      - .offset:         122
        .size:           2
        .value_kind:     hidden_remainder_x
      - .offset:         124
        .size:           2
        .value_kind:     hidden_remainder_y
      - .offset:         126
        .size:           2
        .value_kind:     hidden_remainder_z
      - .offset:         144
        .size:           8
        .value_kind:     hidden_global_offset_x
      - .offset:         152
        .size:           8
        .value_kind:     hidden_global_offset_y
      - .offset:         160
        .size:           8
        .value_kind:     hidden_global_offset_z
      - .offset:         168
        .size:           2
        .value_kind:     hidden_grid_dims
    .group_segment_fixed_size: 0
    .kernarg_segment_align: 8
    .kernarg_segment_size: 360
    .language:       OpenCL C
    .language_version:
      - 2
      - 0
    .max_flat_workgroup_size: 1024
    .name:           _Z38modulated_deformable_col2im_gpu_kerneliPKfS0_S0_iiiiiiiiiiiiiiiiPf
    .private_segment_fixed_size: 0
    .sgpr_count:     68
    .sgpr_spill_count: 0
    .symbol:         _Z38modulated_deformable_col2im_gpu_kerneliPKfS0_S0_iiiiiiiiiiiiiiiiPf.kd
    .uniform_work_group_size: 1
    .uses_dynamic_stack: false
    .vgpr_count:     35
    .vgpr_spill_count: 0
    .wavefront_size: 64
  - .args:
      - .offset:         0
        .size:           4
        .value_kind:     by_value
      - .address_space:  global
        .offset:         8
        .size:           8
        .value_kind:     global_buffer
      - .address_space:  global
        .offset:         16
        .size:           8
        .value_kind:     global_buffer
      - .address_space:  global
        .offset:         24
        .size:           8
        .value_kind:     global_buffer
      - .address_space:  global
        .offset:         32
        .size:           8
        .value_kind:     global_buffer
      - .offset:         40
        .size:           4
        .value_kind:     by_value
      - .offset:         44
        .size:           4
        .value_kind:     by_value
      - .offset:         48
        .size:           4
        .value_kind:     by_value
      - .offset:         52
        .size:           4
        .value_kind:     by_value
      - .offset:         56
        .size:           4
        .value_kind:     by_value
      - .offset:         60
        .size:           4
        .value_kind:     by_value
      - .offset:         64
        .size:           4
        .value_kind:     by_value
      - .offset:         68
        .size:           4
        .value_kind:     by_value
      - .offset:         72
        .size:           4
        .value_kind:     by_value
      - .offset:         76
        .size:           4
        .value_kind:     by_value
      - .offset:         80
        .size:           4
        .value_kind:     by_value
      - .offset:         84
        .size:           4
        .value_kind:     by_value
      - .offset:         88
        .size:           4
        .value_kind:     by_value
      - .offset:         92
        .size:           4
        .value_kind:     by_value
      - .offset:         96
        .size:           4
        .value_kind:     by_value
      - .offset:         100
        .size:           4
        .value_kind:     by_value
      - .offset:         104
        .size:           4
        .value_kind:     by_value
      - .address_space:  global
        .offset:         112
        .size:           8
        .value_kind:     global_buffer
      - .address_space:  global
        .offset:         120
        .size:           8
        .value_kind:     global_buffer
      - .offset:         128
        .size:           4
        .value_kind:     hidden_block_count_x
      - .offset:         132
        .size:           4
        .value_kind:     hidden_block_count_y
      - .offset:         136
        .size:           4
        .value_kind:     hidden_block_count_z
      - .offset:         140
        .size:           2
        .value_kind:     hidden_group_size_x
      - .offset:         142
        .size:           2
        .value_kind:     hidden_group_size_y
      - .offset:         144
        .size:           2
        .value_kind:     hidden_group_size_z
      - .offset:         146
        .size:           2
        .value_kind:     hidden_remainder_x
      - .offset:         148
        .size:           2
        .value_kind:     hidden_remainder_y
      - .offset:         150
        .size:           2
        .value_kind:     hidden_remainder_z
      - .offset:         168
        .size:           8
        .value_kind:     hidden_global_offset_x
      - .offset:         176
        .size:           8
        .value_kind:     hidden_global_offset_y
      - .offset:         184
        .size:           8
        .value_kind:     hidden_global_offset_z
      - .offset:         192
        .size:           2
        .value_kind:     hidden_grid_dims
    .group_segment_fixed_size: 0
    .kernarg_segment_align: 8
    .kernarg_segment_size: 384
    .language:       OpenCL C
    .language_version:
      - 2
      - 0
    .max_flat_workgroup_size: 1024
    .name:           _Z44modulated_deformable_col2im_coord_gpu_kerneliPKfS0_S0_S0_iiiiiiiiiiiiiiiiiPfS1_
    .private_segment_fixed_size: 0
    .sgpr_count:     82
    .sgpr_spill_count: 0
    .symbol:         _Z44modulated_deformable_col2im_coord_gpu_kerneliPKfS0_S0_S0_iiiiiiiiiiiiiiiiiPfS1_.kd
    .uniform_work_group_size: 1
    .uses_dynamic_stack: false
    .vgpr_count:     46
    .vgpr_spill_count: 0
    .wavefront_size: 64
amdhsa.target:   amdgcn-amd-amdhsa--gfx906
amdhsa.version:
  - 1
  - 2
...

	.end_amdgpu_metadata
